;; amdgpu-corpus repo=ROCm/rocFFT kind=compiled arch=gfx1030 opt=O3
	.text
	.amdgcn_target "amdgcn-amd-amdhsa--gfx1030"
	.amdhsa_code_object_version 6
	.protected	bluestein_single_fwd_len1575_dim1_sp_op_CI_CI ; -- Begin function bluestein_single_fwd_len1575_dim1_sp_op_CI_CI
	.globl	bluestein_single_fwd_len1575_dim1_sp_op_CI_CI
	.p2align	8
	.type	bluestein_single_fwd_len1575_dim1_sp_op_CI_CI,@function
bluestein_single_fwd_len1575_dim1_sp_op_CI_CI: ; @bluestein_single_fwd_len1575_dim1_sp_op_CI_CI
; %bb.0:
	s_load_dwordx4 s[8:11], s[4:5], 0x28
	v_mul_u32_u24_e32 v1, 0x411, v0
	s_mov_b64 s[18:19], s[2:3]
	s_mov_b64 s[16:17], s[0:1]
	v_mov_b32_e32 v218, 0
	s_add_u32 s16, s16, s7
	v_lshrrev_b32_e32 v1, 16, v1
	s_addc_u32 s17, s17, 0
	s_mov_b32 s0, exec_lo
	v_add_nc_u32_e32 v217, s6, v1
	s_waitcnt lgkmcnt(0)
	v_cmpx_gt_u64_e64 s[8:9], v[217:218]
	s_cbranch_execz .LBB0_31
; %bb.1:
	s_clause 0x1
	s_load_dwordx4 s[0:3], s[4:5], 0x18
	s_load_dwordx2 s[6:7], s[4:5], 0x0
	v_mul_lo_u16 v1, v1, 63
	v_sub_nc_u16 v2, v0, v1
	v_and_b32_e32 v244, 0xffff, v2
	v_lshlrev_b32_e32 v255, 3, v244
	s_waitcnt lgkmcnt(0)
	s_load_dwordx4 s[12:15], s[0:1], 0x0
	s_clause 0x4
	global_load_dwordx2 v[98:99], v255, s[6:7]
	global_load_dwordx2 v[88:89], v255, s[6:7] offset:504
	global_load_dwordx2 v[92:93], v255, s[6:7] offset:1008
	;; [unrolled: 1-line block ×4, first 2 shown]
	v_add_co_u32 v182, s0, s6, v255
	v_add_co_ci_u32_e64 v183, null, s7, 0, s0
	v_add_nc_u32_e32 v63, 0x2400, v255
	v_add_co_u32 v0, vcc_lo, 0x1000, v182
	v_add_co_ci_u32_e32 v1, vcc_lo, 0, v183, vcc_lo
	v_add_co_u32 v14, vcc_lo, 0x2000, v182
	v_add_co_ci_u32_e32 v15, vcc_lo, 0, v183, vcc_lo
	;; [unrolled: 2-line block ×3, first 2 shown]
	s_clause 0x6
	global_load_dwordx2 v[218:219], v[14:15], off offset:208
	global_load_dwordx2 v[220:221], v[0:1], off offset:104
	;; [unrolled: 1-line block ×7, first 2 shown]
	buffer_store_dword v14, off, s[16:19], 0 ; 4-byte Folded Spill
	buffer_store_dword v15, off, s[16:19], 0 offset:4 ; 4-byte Folded Spill
	s_waitcnt lgkmcnt(0)
	v_mad_u64_u32 v[3:4], null, s14, v217, 0
	v_mad_u64_u32 v[7:8], null, s12, v244, 0
	v_add_co_u32 v9, vcc_lo, 0x2800, v182
	v_add_co_ci_u32_e32 v10, vcc_lo, 0, v183, vcc_lo
	v_mad_u64_u32 v[11:12], null, s15, v217, v[4:5]
	v_mad_u64_u32 v[12:13], null, s13, v244, v[8:9]
	v_add_co_u32 v57, vcc_lo, 0x800, v182
	v_add_co_ci_u32_e32 v58, vcc_lo, 0, v183, vcc_lo
	v_mov_b32_e32 v4, v11
	s_mul_i32 s1, s13, 0x20d
	v_mov_b32_e32 v8, v12
	s_mul_hi_u32 s7, s12, 0x20d
	s_mul_i32 s0, s12, 0x20d
	v_lshlrev_b64 v[0:1], 3, v[3:4]
	s_mul_hi_u32 s9, s12, 0xfffffc25
	v_lshlrev_b64 v[3:4], 3, v[7:8]
	s_add_i32 s1, s7, s1
	s_mul_i32 s8, s13, 0xfffffc25
	s_mul_i32 s6, s12, 0xfffffc25
	v_add_co_u32 v0, vcc_lo, s10, v0
	v_add_co_ci_u32_e32 v1, vcc_lo, s11, v1, vcc_lo
	s_sub_i32 s7, s9, s12
	v_add_co_u32 v0, vcc_lo, v0, v3
	v_add_co_ci_u32_e32 v1, vcc_lo, v1, v4, vcc_lo
	s_lshl_b64 s[12:13], s[0:1], 3
	s_add_i32 s7, s7, s8
	v_add_co_u32 v3, vcc_lo, v0, s12
	v_add_co_ci_u32_e32 v4, vcc_lo, s13, v1, vcc_lo
	s_lshl_b64 s[0:1], s[6:7], 3
	v_add_co_u32 v7, vcc_lo, v3, s12
	v_add_co_ci_u32_e32 v8, vcc_lo, s13, v4, vcc_lo
	global_load_dwordx2 v[82:83], v[57:58], off offset:472
	v_add_co_u32 v11, vcc_lo, v7, s0
	v_add_co_ci_u32_e32 v12, vcc_lo, s1, v8, vcc_lo
	v_add_co_u32 v13, vcc_lo, v11, s12
	global_load_dwordx2 v[96:97], v[14:15], off offset:1720
	v_add_co_ci_u32_e32 v14, vcc_lo, s13, v12, vcc_lo
	v_add_co_u32 v15, vcc_lo, v13, s12
	s_clause 0x1
	global_load_dwordx2 v[86:87], v[5:6], off offset:72
	global_load_dwordx2 v[66:67], v[5:6], off offset:576
	v_add_co_ci_u32_e32 v16, vcc_lo, s13, v14, vcc_lo
	v_add_co_u32 v17, vcc_lo, v15, s0
	s_clause 0x1
	global_load_dwordx2 v[19:20], v[0:1], off
	global_load_dwordx2 v[21:22], v[3:4], off
	v_add_co_ci_u32_e32 v18, vcc_lo, s1, v16, vcc_lo
	v_add_co_u32 v0, vcc_lo, v17, s12
	s_clause 0x2
	global_load_dwordx2 v[7:8], v[7:8], off
	global_load_dwordx2 v[11:12], v[11:12], off
	;; [unrolled: 1-line block ×3, first 2 shown]
	v_add_co_ci_u32_e32 v1, vcc_lo, s13, v18, vcc_lo
	v_add_co_u32 v3, vcc_lo, v0, s12
	global_load_dwordx2 v[23:24], v[15:16], off
	v_add_co_ci_u32_e32 v4, vcc_lo, s13, v1, vcc_lo
	v_add_co_u32 v15, vcc_lo, v3, s0
	global_load_dwordx2 v[25:26], v[17:18], off
	;; [unrolled: 3-line block ×9, first 2 shown]
	v_add_co_ci_u32_e32 v4, vcc_lo, s13, v1, vcc_lo
	v_add_co_u32 v15, vcc_lo, v3, s12
	s_clause 0x1
	global_load_dwordx2 v[90:91], v[9:10], off offset:176
	global_load_dwordx2 v[80:81], v[9:10], off offset:680
	v_add_co_ci_u32_e32 v16, vcc_lo, s13, v4, vcc_lo
	v_add_co_u32 v41, vcc_lo, v15, s0
	v_add_co_ci_u32_e32 v42, vcc_lo, s1, v16, vcc_lo
	global_load_dwordx2 v[43:44], v[17:18], off
	global_load_dwordx2 v[45:46], v[0:1], off
	;; [unrolled: 1-line block ×5, first 2 shown]
	v_add_co_u32 v0, vcc_lo, v41, s12
	v_add_co_ci_u32_e32 v1, vcc_lo, s13, v42, vcc_lo
	global_load_dwordx2 v[72:73], v[57:58], off offset:976
	v_add_co_u32 v3, vcc_lo, v0, s12
	v_add_co_ci_u32_e32 v4, vcc_lo, s13, v1, vcc_lo
	global_load_dwordx2 v[41:42], v[0:1], off
	v_add_co_u32 v0, vcc_lo, v3, s0
	v_add_co_ci_u32_e32 v1, vcc_lo, s1, v4, vcc_lo
	global_load_dwordx2 v[74:75], v[5:6], off offset:1080
	global_load_dwordx2 v[53:54], v[3:4], off
	global_load_dwordx2 v[76:77], v[9:10], off offset:1184
	global_load_dwordx2 v[55:56], v[0:1], off
	buffer_store_dword v57, off, s[16:19], 0 offset:8 ; 4-byte Folded Spill
	buffer_store_dword v58, off, s[16:19], 0 offset:12 ; 4-byte Folded Spill
	v_add_co_u32 v3, vcc_lo, v0, s12
	v_add_co_ci_u32_e32 v4, vcc_lo, s13, v1, vcc_lo
	v_add_nc_u32_e32 v15, 0x1400, v255
	v_add_co_u32 v0, vcc_lo, v3, s12
	v_add_co_ci_u32_e32 v1, vcc_lo, s13, v4, vcc_lo
	v_add_nc_u32_e32 v17, 0x1800, v255
	v_add_nc_u32_e32 v16, 0x2800, v255
	v_cmp_gt_u16_e32 vcc_lo, 21, v2
	s_waitcnt vmcnt(26)
	v_mul_f32_e32 v18, v20, v99
	v_mul_f32_e32 v60, v19, v99
	s_waitcnt vmcnt(25)
	v_mul_f32_e32 v59, v22, v221
	v_mul_f32_e32 v61, v21, v221
	v_fmac_f32_e32 v18, v19, v98
	v_fmac_f32_e32 v59, v21, v220
	s_waitcnt vmcnt(24)
	v_mul_f32_e32 v21, v7, v219
	v_fma_f32 v21, v8, v218, -v21
	global_load_dwordx2 v[64:65], v[57:58], off offset:1480
	global_load_dwordx2 v[57:58], v[3:4], off
	s_clause 0x1
	global_load_dwordx2 v[68:69], v[5:6], off offset:1584
	global_load_dwordx2 v[70:71], v[9:10], off offset:1688
	global_load_dwordx2 v[9:10], v[0:1], off
	s_load_dwordx2 s[6:7], s[4:5], 0x38
	s_load_dwordx4 s[8:11], s[2:3], 0x0
	buffer_store_dword v98, off, s[16:19], 0 offset:152 ; 4-byte Folded Spill
	buffer_store_dword v99, off, s[16:19], 0 offset:156 ; 4-byte Folded Spill
	v_add_nc_u32_e32 v6, 0x1000, v255
	v_add_nc_u32_e32 v5, 0x2000, v255
	;; [unrolled: 1-line block ×4, first 2 shown]
	v_fma_f32 v19, v20, v98, -v60
	v_fma_f32 v60, v22, v220, -v61
	s_waitcnt vmcnt(28)
	v_mul_f32_e32 v61, v12, v89
	v_mul_f32_e32 v22, v11, v89
	;; [unrolled: 1-line block ×3, first 2 shown]
	s_waitcnt vmcnt(27)
	v_mul_f32_e32 v8, v13, v105
	ds_write_b64 v255, v[59:60] offset:4200
	v_fmac_f32_e32 v61, v11, v88
	buffer_store_dword v88, off, s[16:19], 0 offset:112 ; 4-byte Folded Spill
	buffer_store_dword v89, off, s[16:19], 0 offset:116 ; 4-byte Folded Spill
	v_fmac_f32_e32 v20, v7, v218
	v_mul_f32_e32 v7, v14, v105
	s_waitcnt vmcnt(26)
	v_mul_f32_e32 v11, v24, v107
	ds_write_b64 v255, v[20:21] offset:8400
	v_fmac_f32_e32 v7, v13, v104
	s_waitcnt vmcnt(25)
	v_mul_f32_e32 v13, v26, v93
	v_fmac_f32_e32 v11, v23, v106
	s_waitcnt vmcnt(23)
	v_mul_f32_e32 v20, v30, v103
	v_mul_f32_e32 v21, v29, v103
	v_fmac_f32_e32 v13, v25, v92
	v_fmac_f32_e32 v20, v29, v102
	v_fma_f32 v62, v12, v88, -v22
	v_mul_f32_e32 v12, v23, v107
	s_waitcnt vmcnt(22)
	v_mul_f32_e32 v22, v32, v85
	v_mul_f32_e32 v23, v31, v85
	ds_write2_b64 v255, v[18:19], v[61:62] offset1:63
	buffer_store_dword v104, off, s[16:19], 0 offset:176 ; 4-byte Folded Spill
	buffer_store_dword v105, off, s[16:19], 0 offset:180 ; 4-byte Folded Spill
	v_mul_f32_e32 v18, v28, v101
	v_mul_f32_e32 v19, v27, v101
	buffer_store_dword v106, off, s[16:19], 0 offset:184 ; 4-byte Folded Spill
	buffer_store_dword v107, off, s[16:19], 0 offset:188 ; 4-byte Folded Spill
	v_fmac_f32_e32 v22, v31, v84
	v_fmac_f32_e32 v18, v27, v100
	v_fma_f32 v8, v14, v104, -v8
	v_mul_f32_e32 v14, v25, v93
	buffer_store_dword v92, off, s[16:19], 0 offset:128 ; 4-byte Folded Spill
	buffer_store_dword v93, off, s[16:19], 0 offset:132 ; 4-byte Folded Spill
	;; [unrolled: 1-line block ×4, first 2 shown]
	v_fma_f32 v12, v24, v106, -v12
	v_fma_f32 v14, v26, v92, -v14
	;; [unrolled: 1-line block ×3, first 2 shown]
	ds_write2_b64 v6, v[7:8], v[18:19] offset0:76 offset1:139
	buffer_store_dword v102, off, s[16:19], 0 offset:168 ; 4-byte Folded Spill
	buffer_store_dword v103, off, s[16:19], 0 offset:172 ; 4-byte Folded Spill
	;; [unrolled: 1-line block ×4, first 2 shown]
	s_waitcnt vmcnt(21)
	v_mul_f32_e32 v7, v34, v95
	s_waitcnt vmcnt(18)
	v_mul_f32_e32 v18, v40, v87
	v_mul_f32_e32 v8, v33, v95
	;; [unrolled: 1-line block ×3, first 2 shown]
	v_fmac_f32_e32 v7, v33, v94
	v_fmac_f32_e32 v18, v39, v86
	v_fma_f32 v21, v30, v102, -v21
	v_fma_f32 v23, v32, v84, -v23
	ds_write2_b64 v5, v[11:12], v[20:21] offset0:89 offset1:152
	v_mul_f32_e32 v11, v36, v97
	ds_write2_b64 v255, v[13:14], v[22:23] offset0:126 offset1:189
	v_mul_f32_e32 v13, v38, v79
	buffer_store_dword v94, off, s[16:19], 0 offset:136 ; 4-byte Folded Spill
	buffer_store_dword v95, off, s[16:19], 0 offset:140 ; 4-byte Folded Spill
	v_mul_f32_e32 v12, v35, v97
	v_fmac_f32_e32 v11, v35, v96
	v_mul_f32_e32 v14, v37, v79
	buffer_store_dword v96, off, s[16:19], 0 offset:144 ; 4-byte Folded Spill
	buffer_store_dword v97, off, s[16:19], 0 offset:148 ; 4-byte Folded Spill
	v_fmac_f32_e32 v13, v37, v78
	buffer_store_dword v78, off, s[16:19], 0 offset:72 ; 4-byte Folded Spill
	buffer_store_dword v79, off, s[16:19], 0 offset:76 ; 4-byte Folded Spill
	;; [unrolled: 1-line block ×4, first 2 shown]
	s_waitcnt vmcnt(15)
	v_mul_f32_e32 v20, v44, v91
	v_mul_f32_e32 v21, v43, v91
	s_waitcnt vmcnt(14)
	v_mul_f32_e32 v22, v46, v83
	v_mul_f32_e32 v23, v45, v83
	v_fmac_f32_e32 v20, v43, v90
	v_fmac_f32_e32 v22, v45, v82
	v_fma_f32 v8, v34, v94, -v8
	v_fma_f32 v12, v36, v96, -v12
	v_fma_f32 v14, v38, v78, -v14
	v_fma_f32 v19, v40, v86, -v19
	ds_write2_b64 v15, v[7:8], v[18:19] offset0:74 offset1:137
	buffer_store_dword v90, off, s[16:19], 0 offset:120 ; 4-byte Folded Spill
	buffer_store_dword v91, off, s[16:19], 0 offset:124 ; 4-byte Folded Spill
	;; [unrolled: 1-line block ×4, first 2 shown]
	s_waitcnt vmcnt(13)
	v_mul_f32_e32 v7, v48, v67
	s_waitcnt vmcnt(8)
	v_mul_f32_e32 v18, v42, v75
	v_mul_f32_e32 v8, v47, v67
	;; [unrolled: 1-line block ×3, first 2 shown]
	v_fmac_f32_e32 v7, v47, v66
	v_fmac_f32_e32 v18, v41, v74
	v_fma_f32 v21, v44, v90, -v21
	v_fma_f32 v23, v46, v82, -v23
	ds_write2_b64 v63, v[11:12], v[20:21] offset0:87 offset1:150
	v_mul_f32_e32 v11, v50, v81
	ds_write2_b64 v4, v[13:14], v[22:23] offset0:124 offset1:187
	buffer_store_dword v66, off, s[16:19], 0 offset:24 ; 4-byte Folded Spill
	buffer_store_dword v67, off, s[16:19], 0 offset:28 ; 4-byte Folded Spill
	v_mul_f32_e32 v12, v49, v81
	v_mul_f32_e32 v14, v41, v75
	v_fmac_f32_e32 v11, v49, v80
	buffer_store_dword v80, off, s[16:19], 0 offset:80 ; 4-byte Folded Spill
	buffer_store_dword v81, off, s[16:19], 0 offset:84 ; 4-byte Folded Spill
	;; [unrolled: 1-line block ×4, first 2 shown]
	v_mul_f32_e32 v13, v52, v73
	s_waitcnt vmcnt(6)
	v_mul_f32_e32 v20, v54, v77
	s_waitcnt vmcnt(4)
	v_mul_f32_e32 v22, v56, v65
	v_mul_f32_e32 v21, v53, v77
	v_fmac_f32_e32 v13, v51, v72
	buffer_store_dword v72, off, s[16:19], 0 offset:48 ; 4-byte Folded Spill
	buffer_store_dword v73, off, s[16:19], 0 offset:52 ; 4-byte Folded Spill
	v_fmac_f32_e32 v20, v53, v76
	v_fmac_f32_e32 v22, v55, v64
	v_fma_f32 v8, v48, v66, -v8
	v_fma_f32 v12, v50, v80, -v12
	;; [unrolled: 1-line block ×3, first 2 shown]
	ds_write2_b64 v17, v[7:8], v[18:19] offset0:72 offset1:135
	s_waitcnt vmcnt(2)
	v_mul_f32_e32 v7, v58, v69
	s_waitcnt vmcnt(0)
	v_mul_f32_e32 v18, v10, v71
	buffer_store_dword v76, off, s[16:19], 0 offset:64 ; 4-byte Folded Spill
	buffer_store_dword v77, off, s[16:19], 0 offset:68 ; 4-byte Folded Spill
	v_mul_f32_e32 v8, v55, v65
	buffer_store_dword v64, off, s[16:19], 0 offset:16 ; 4-byte Folded Spill
	buffer_store_dword v65, off, s[16:19], 0 offset:20 ; 4-byte Folded Spill
	v_fma_f32 v14, v52, v72, -v15
	v_mul_f32_e32 v15, v57, v69
	v_fmac_f32_e32 v7, v57, v68
	buffer_store_dword v68, off, s[16:19], 0 offset:32 ; 4-byte Folded Spill
	buffer_store_dword v69, off, s[16:19], 0 offset:36 ; 4-byte Folded Spill
	v_mul_f32_e32 v19, v9, v71
	v_fmac_f32_e32 v18, v9, v70
	buffer_store_dword v70, off, s[16:19], 0 offset:40 ; 4-byte Folded Spill
	buffer_store_dword v71, off, s[16:19], 0 offset:44 ; 4-byte Folded Spill
	v_fma_f32 v21, v54, v76, -v21
	v_fma_f32 v23, v56, v64, -v8
	;; [unrolled: 1-line block ×4, first 2 shown]
	ds_write2_b64 v16, v[11:12], v[20:21] offset0:85 offset1:148
	ds_write2_b64 v3, v[13:14], v[22:23] offset0:122 offset1:185
	ds_write_b64 v255, v[7:8] offset:7728
	ds_write_b64 v255, v[18:19] offset:11928
	s_and_saveexec_b32 s2, vcc_lo
	s_cbranch_execz .LBB0_3
; %bb.2:
	s_clause 0x1
	buffer_load_dword v7, off, s[16:19], 0 offset:8
	buffer_load_dword v8, off, s[16:19], 0 offset:12
	v_add_co_u32 v0, s0, v0, s0
	v_add_co_ci_u32_e64 v1, s0, s1, v1, s0
	s_waitcnt vmcnt(0)
	global_load_dwordx2 v[7:8], v[7:8], off offset:1984
	global_load_dwordx2 v[9:10], v[0:1], off
	v_add_co_u32 v0, s0, v0, s12
	v_add_co_ci_u32_e64 v1, s0, s13, v1, s0
	v_add_co_u32 v11, s0, 0x3000, v182
	v_add_co_ci_u32_e64 v12, s0, 0, v183, s0
	;; [unrolled: 2-line block ×3, first 2 shown]
	global_load_dwordx2 v[0:1], v[0:1], off
	s_clause 0x1
	buffer_load_dword v18, off, s[16:19], 0
	buffer_load_dword v19, off, s[16:19], 0 offset:4
	s_waitcnt vmcnt(0)
	s_clause 0x1
	global_load_dwordx2 v[18:19], v[18:19], off offset:40
	global_load_dwordx2 v[11:12], v[11:12], off offset:144
	global_load_dwordx2 v[13:14], v[13:14], off
	v_mul_f32_e32 v20, v10, v8
	v_mul_f32_e32 v2, v9, v8
	v_fmac_f32_e32 v20, v9, v7
	v_fma_f32 v21, v10, v7, -v2
	s_waitcnt vmcnt(2)
	v_mul_f32_e32 v8, v1, v19
	v_mul_f32_e32 v9, v0, v19
	s_waitcnt vmcnt(0)
	v_mul_f32_e32 v22, v14, v12
	v_mul_f32_e32 v12, v13, v12
	v_fmac_f32_e32 v8, v0, v18
	v_fma_f32 v9, v1, v18, -v9
	v_fmac_f32_e32 v22, v13, v11
	v_fma_f32 v23, v14, v11, -v12
	ds_write_b64 v255, v[20:21] offset:4032
	ds_write_b64 v255, v[8:9] offset:8232
	;; [unrolled: 1-line block ×3, first 2 shown]
.LBB0_3:
	s_or_b32 exec_lo, exec_lo, s2
	s_waitcnt lgkmcnt(0)
	s_waitcnt_vscnt null, 0x0
	s_barrier
	buffer_gl0_inv
	ds_read2_b64 v[12:15], v255 offset1:63
	ds_read2_b64 v[40:43], v6 offset0:13 offset1:76
	ds_read2_b64 v[44:47], v5 offset0:26 offset1:89
	;; [unrolled: 1-line block ×11, first 2 shown]
                                        ; implicit-def: $vgpr84
                                        ; implicit-def: $vgpr48
                                        ; implicit-def: $vgpr50
	s_and_saveexec_b32 s0, vcc_lo
	s_cbranch_execz .LBB0_5
; %bb.4:
	ds_read_b64 v[84:85], v255 offset:4032
	ds_read_b64 v[50:51], v255 offset:8232
	;; [unrolled: 1-line block ×3, first 2 shown]
.LBB0_5:
	s_or_b32 exec_lo, exec_lo, s0
	v_add_co_u32 v158, s0, v244, 63
	v_add_co_ci_u32_e64 v52, null, 0, 0, s0
	v_add_co_u32 v157, s0, 0x7e, v244
	v_add_co_ci_u32_e64 v52, null, 0, 0, s0
	;; [unrolled: 2-line block ×6, first 2 shown]
	s_waitcnt lgkmcnt(9)
	v_add_f32_e32 v52, v40, v44
	v_add_f32_e32 v53, v12, v40
	;; [unrolled: 1-line block ×3, first 2 shown]
	v_sub_f32_e32 v55, v41, v45
	v_add_f32_e32 v41, v13, v41
	v_fma_f32 v12, -0.5, v52, v12
	v_add_f32_e32 v52, v53, v44
	v_fma_f32 v13, -0.5, v54, v13
	v_sub_f32_e32 v44, v40, v44
	v_add_f32_e32 v53, v41, v45
	v_add_f32_e32 v45, v42, v46
	v_fmamk_f32 v40, v55, 0x3f5db3d7, v12
	v_fmac_f32_e32 v12, 0xbf5db3d7, v55
	v_add_f32_e32 v54, v14, v42
	v_add_f32_e32 v55, v43, v47
	v_fma_f32 v14, -0.5, v45, v14
	v_sub_f32_e32 v45, v43, v47
	v_add_f32_e32 v43, v15, v43
	v_fmamk_f32 v41, v44, 0xbf5db3d7, v13
	v_fmac_f32_e32 v13, 0x3f5db3d7, v44
	v_add_f32_e32 v44, v54, v46
	v_sub_f32_e32 v46, v42, v46
	v_fmamk_f32 v42, v45, 0x3f5db3d7, v14
	v_fmac_f32_e32 v14, 0xbf5db3d7, v45
	v_add_f32_e32 v45, v43, v47
	s_waitcnt lgkmcnt(6)
	v_add_f32_e32 v47, v32, v36
	v_fmac_f32_e32 v15, -0.5, v55
	v_add_f32_e32 v54, v8, v32
	v_add_f32_e32 v55, v33, v37
	v_add_co_u32 v156, null, 0xbd, v244
	v_fma_f32 v8, -0.5, v47, v8
	v_sub_f32_e32 v47, v33, v37
	v_add_f32_e32 v33, v9, v33
	v_fmamk_f32 v43, v46, 0xbf5db3d7, v15
	v_fmac_f32_e32 v15, 0x3f5db3d7, v46
	v_add_f32_e32 v46, v54, v36
	v_sub_f32_e32 v36, v32, v36
	v_fmamk_f32 v32, v47, 0x3f5db3d7, v8
	v_fmac_f32_e32 v8, 0xbf5db3d7, v47
	v_add_f32_e32 v47, v33, v37
	v_add_f32_e32 v37, v34, v38
	v_fma_f32 v9, -0.5, v55, v9
	v_add_f32_e32 v54, v10, v34
	v_add_f32_e32 v55, v35, v39
	s_load_dwordx2 s[2:3], s[4:5], 0x8
	v_fma_f32 v10, -0.5, v37, v10
	v_sub_f32_e32 v37, v35, v39
	v_add_f32_e32 v35, v11, v35
	v_fmamk_f32 v33, v36, 0xbf5db3d7, v9
	v_fmac_f32_e32 v9, 0x3f5db3d7, v36
	v_add_f32_e32 v36, v54, v38
	v_sub_f32_e32 v38, v34, v38
	v_fmamk_f32 v34, v37, 0x3f5db3d7, v10
	v_fmac_f32_e32 v10, 0xbf5db3d7, v37
	v_add_f32_e32 v37, v35, v39
	s_waitcnt lgkmcnt(0)
	v_add_f32_e32 v39, v24, v28
	v_fmac_f32_e32 v11, -0.5, v55
	v_add_f32_e32 v54, v4, v24
	v_add_f32_e32 v55, v25, v29
	v_fma_f32 v4, -0.5, v39, v4
	v_sub_f32_e32 v39, v25, v29
	v_add_f32_e32 v25, v5, v25
	v_fmamk_f32 v35, v38, 0xbf5db3d7, v11
	v_fmac_f32_e32 v11, 0x3f5db3d7, v38
	v_add_f32_e32 v38, v54, v28
	v_sub_f32_e32 v28, v24, v28
	v_fmamk_f32 v24, v39, 0x3f5db3d7, v4
	v_fmac_f32_e32 v4, 0xbf5db3d7, v39
	v_add_f32_e32 v39, v25, v29
	v_add_f32_e32 v29, v26, v30
	v_fma_f32 v5, -0.5, v55, v5
	v_add_f32_e32 v54, v6, v26
	v_add_f32_e32 v55, v27, v31
	s_barrier
	v_fma_f32 v6, -0.5, v29, v6
	v_sub_f32_e32 v29, v27, v31
	v_add_f32_e32 v27, v7, v27
	v_fmamk_f32 v25, v28, 0xbf5db3d7, v5
	v_fmac_f32_e32 v5, 0x3f5db3d7, v28
	v_add_f32_e32 v28, v54, v30
	v_sub_f32_e32 v30, v26, v30
	v_fmamk_f32 v26, v29, 0x3f5db3d7, v6
	v_fmac_f32_e32 v6, 0xbf5db3d7, v29
	v_add_f32_e32 v29, v27, v31
	v_add_f32_e32 v31, v20, v16
	v_fmac_f32_e32 v7, -0.5, v55
	v_add_f32_e32 v54, v0, v20
	v_add_f32_e32 v55, v21, v17
	v_sub_f32_e32 v20, v20, v16
	v_fma_f32 v0, -0.5, v31, v0
	v_sub_f32_e32 v31, v21, v17
	v_add_f32_e32 v21, v1, v21
	v_fmamk_f32 v27, v30, 0xbf5db3d7, v7
	v_fmac_f32_e32 v7, 0x3f5db3d7, v30
	v_add_f32_e32 v30, v54, v16
	v_fma_f32 v1, -0.5, v55, v1
	v_fmamk_f32 v16, v31, 0x3f5db3d7, v0
	v_fmac_f32_e32 v0, 0xbf5db3d7, v31
	v_add_f32_e32 v31, v21, v17
	v_add_f32_e32 v21, v22, v18
	;; [unrolled: 1-line block ×4, first 2 shown]
	v_sub_f32_e32 v22, v22, v18
	v_fmamk_f32 v17, v20, 0xbf5db3d7, v1
	v_fma_f32 v2, -0.5, v21, v2
	v_sub_f32_e32 v21, v23, v19
	v_add_f32_e32 v23, v3, v23
	v_fmac_f32_e32 v3, -0.5, v55
	v_fmac_f32_e32 v1, 0x3f5db3d7, v20
	v_add_f32_e32 v20, v54, v18
	v_fmamk_f32 v18, v21, 0x3f5db3d7, v2
	v_fmac_f32_e32 v2, 0xbf5db3d7, v21
	v_add_f32_e32 v21, v23, v19
	v_fmamk_f32 v19, v22, 0xbf5db3d7, v3
	v_add_f32_e32 v23, v84, v50
	v_add_f32_e32 v55, v49, v51
	v_fmac_f32_e32 v3, 0x3f5db3d7, v22
	v_add_f32_e32 v22, v85, v51
	v_add_f32_e32 v54, v48, v50
	;; [unrolled: 1-line block ×3, first 2 shown]
	v_fmac_f32_e32 v85, -0.5, v55
	v_sub_f32_e32 v23, v50, v48
	v_add_f32_e32 v87, v49, v22
	v_mul_lo_u16 v22, v244, 3
	v_mov_b32_e32 v48, 3
	v_fmac_f32_e32 v84, -0.5, v54
	v_fmamk_f32 v89, v23, 0xbf5db3d7, v85
	v_fmac_f32_e32 v85, 0x3f5db3d7, v23
	v_mul_u32_u24_e32 v23, 3, v158
	v_lshlrev_b32_sdwa v48, v48, v22 dst_sel:DWORD dst_unused:UNUSED_PAD src0_sel:DWORD src1_sel:WORD_0
	v_mul_u32_u24_e32 v22, 3, v157
	v_sub_f32_e32 v54, v51, v49
	buffer_gl0_inv
	v_lshlrev_b32_e32 v49, 3, v23
	v_mul_u32_u24_e32 v23, 3, v156
	v_lshlrev_b32_e32 v22, 3, v22
	ds_write2_b64 v48, v[52:53], v[40:41] offset1:1
	ds_write_b64 v48, v[12:13] offset:16
	ds_write2_b64 v49, v[44:45], v[42:43] offset1:1
	ds_write_b64 v49, v[14:15] offset:16
	v_lshlrev_b32_e32 v13, 3, v23
	v_mul_u32_u24_e32 v12, 3, v162
	ds_write_b64 v22, v[8:9] offset:16
	v_mul_u32_u24_e32 v8, 3, v91
	v_add_co_u32 v95, null, 0x1f8, v244
	ds_write2_b64 v22, v[46:47], v[32:33] offset1:1
	v_lshlrev_b32_e32 v12, 3, v12
	ds_write_b64 v13, v[10:11] offset:16
	v_mul_u32_u24_e32 v9, 3, v94
	v_lshlrev_b32_e32 v10, 3, v8
	v_mul_u32_u24_e32 v8, 3, v93
	v_fmamk_f32 v88, v54, 0x3f5db3d7, v84
	v_fmac_f32_e32 v84, 0xbf5db3d7, v54
	ds_write2_b64 v13, v[36:37], v[34:35] offset1:1
	ds_write_b64 v12, v[4:5] offset:16
	v_lshlrev_b32_e32 v9, 3, v9
	v_lshlrev_b32_e32 v4, 3, v8
	v_mul_u32_u24_e32 v5, 3, v95
	buffer_store_dword v48, off, s[16:19], 0 offset:228 ; 4-byte Folded Spill
	buffer_store_dword v49, off, s[16:19], 0 offset:232 ; 4-byte Folded Spill
	;; [unrolled: 1-line block ×4, first 2 shown]
	ds_write2_b64 v12, v[38:39], v[24:25] offset1:1
	buffer_store_dword v12, off, s[16:19], 0 offset:244 ; 4-byte Folded Spill
	ds_write2_b64 v10, v[28:29], v[26:27] offset1:1
	buffer_store_dword v10, off, s[16:19], 0 offset:252 ; 4-byte Folded Spill
	ds_write_b64 v10, v[6:7] offset:16
	buffer_store_dword v5, off, s[16:19], 0 offset:280 ; 4-byte Folded Spill
	ds_write2_b64 v9, v[30:31], v[16:17] offset1:1
	buffer_store_dword v9, off, s[16:19], 0 offset:256 ; 4-byte Folded Spill
	ds_write_b64 v9, v[0:1] offset:16
	ds_write2_b64 v4, v[20:21], v[18:19] offset1:1
	buffer_store_dword v4, off, s[16:19], 0 offset:248 ; 4-byte Folded Spill
	ds_write_b64 v4, v[2:3] offset:16
	s_and_saveexec_b32 s0, vcc_lo
	s_cbranch_execz .LBB0_7
; %bb.6:
	v_mul_u32_u24_e32 v0, 3, v95
	v_lshlrev_b32_e32 v0, 3, v0
	ds_write2_b64 v0, v[86:87], v[88:89] offset1:1
	ds_write_b64 v0, v[84:85] offset:16
.LBB0_7:
	s_or_b32 exec_lo, exec_lo, s0
	v_add_nc_u32_e32 v8, 0x1000, v255
	v_add_nc_u32_e32 v9, 0x2000, v255
	s_waitcnt lgkmcnt(0)
	s_waitcnt_vscnt null, 0x0
	s_barrier
	buffer_gl0_inv
	ds_read2_b64 v[0:3], v255 offset1:63
	ds_read2_b64 v[60:63], v8 offset0:13 offset1:76
	ds_read2_b64 v[56:59], v9 offset0:26 offset1:89
	;; [unrolled: 1-line block ×4, first 2 shown]
	v_add_nc_u32_e32 v8, 0x400, v255
	v_add_nc_u32_e32 v10, 0x1800, v255
	;; [unrolled: 1-line block ×4, first 2 shown]
	ds_read2_b64 v[80:83], v9 offset0:152 offset1:215
	ds_read2_b64 v[32:35], v8 offset0:124 offset1:187
	;; [unrolled: 1-line block ×7, first 2 shown]
	s_and_saveexec_b32 s0, vcc_lo
	s_cbranch_execz .LBB0_9
; %bb.8:
	ds_read_b64 v[86:87], v255 offset:4032
	ds_read_b64 v[88:89], v255 offset:8232
	;; [unrolled: 1-line block ×3, first 2 shown]
.LBB0_9:
	s_or_b32 exec_lo, exec_lo, s0
	v_and_b32_e32 v92, 0xff, v244
	v_and_b32_e32 v90, 0xff, v158
	;; [unrolled: 1-line block ×4, first 2 shown]
	v_mov_b32_e32 v10, 0xaaab
	v_mul_lo_u16 v8, 0xab, v92
	v_mul_lo_u16 v9, 0xab, v90
	;; [unrolled: 1-line block ×4, first 2 shown]
	v_mov_b32_e32 v111, 9
	v_lshrrev_b16 v96, 9, v8
	v_lshrrev_b16 v97, 9, v9
	;; [unrolled: 1-line block ×4, first 2 shown]
	v_mul_u32_u24_sdwa v8, v162, v10 dst_sel:DWORD dst_unused:UNUSED_PAD src0_sel:WORD_0 src1_sel:DWORD
	v_mul_lo_u16 v9, v96, 3
	v_mul_lo_u16 v11, v97, 3
	;; [unrolled: 1-line block ×4, first 2 shown]
	v_lshrrev_b32_e32 v100, 17, v8
	v_sub_nc_u16 v9, v244, v9
	v_sub_nc_u16 v11, v158, v11
	;; [unrolled: 1-line block ×4, first 2 shown]
	v_mul_u32_u24_sdwa v12, v91, v10 dst_sel:DWORD dst_unused:UNUSED_PAD src0_sel:WORD_0 src1_sel:DWORD
	v_and_b32_e32 v101, 0xff, v9
	v_and_b32_e32 v102, 0xff, v11
	v_mul_lo_u16 v9, v100, 3
	v_and_b32_e32 v103, 0xff, v8
	v_and_b32_e32 v104, 0xff, v13
	v_lshlrev_b32_e32 v8, 4, v101
	v_lshlrev_b32_e32 v11, 4, v102
	v_sub_nc_u16 v105, v162, v9
	v_lshlrev_b32_e32 v9, 4, v103
	v_lshlrev_b32_e32 v13, 4, v104
	s_clause 0x1
	global_load_dwordx4 v[48:51], v8, s[2:3]
	global_load_dwordx4 v[36:39], v11, s[2:3]
	v_mul_u32_u24_sdwa v8, v94, v10 dst_sel:DWORD dst_unused:UNUSED_PAD src0_sel:WORD_0 src1_sel:DWORD
	v_lshrrev_b32_e32 v106, 17, v12
	s_clause 0x1
	global_load_dwordx4 v[28:31], v9, s[2:3]
	global_load_dwordx4 v[16:19], v13, s[2:3]
	v_mul_u32_u24_sdwa v9, v93, v10 dst_sel:DWORD dst_unused:UNUSED_PAD src0_sel:WORD_0 src1_sel:DWORD
	v_mul_u32_u24_sdwa v10, v95, v10 dst_sel:DWORD dst_unused:UNUSED_PAD src0_sel:WORD_0 src1_sel:DWORD
	v_lshrrev_b32_e32 v107, 17, v8
	v_mul_lo_u16 v8, v106, 3
	v_lshlrev_b16 v11, 1, v105
	v_lshrrev_b32_e32 v108, 17, v9
	v_lshrrev_b32_e32 v110, 17, v10
	v_mul_lo_u16 v9, v107, 3
	v_sub_nc_u16 v109, v91, v8
	v_mov_b32_e32 v91, 3
	v_mul_lo_u16 v8, v108, 3
	v_mul_u32_u24_sdwa v96, v96, v111 dst_sel:DWORD dst_unused:UNUSED_PAD src0_sel:WORD_0 src1_sel:DWORD
	v_sub_nc_u16 v94, v94, v9
	v_lshlrev_b16 v9, 1, v109
	v_lshlrev_b32_sdwa v10, v91, v11 dst_sel:DWORD dst_unused:UNUSED_PAD src0_sel:DWORD src1_sel:WORD_0
	v_mul_lo_u16 v11, v110, 3
	v_sub_nc_u16 v93, v93, v8
	v_lshlrev_b16 v8, 1, v94
	v_lshlrev_b32_sdwa v9, v91, v9 dst_sel:DWORD dst_unused:UNUSED_PAD src0_sel:DWORD src1_sel:WORD_0
	global_load_dwordx4 v[44:47], v10, s[2:3]
	v_sub_nc_u16 v95, v95, v11
	v_lshlrev_b16 v10, 1, v93
	v_lshlrev_b32_sdwa v8, v91, v8 dst_sel:DWORD dst_unused:UNUSED_PAD src0_sel:DWORD src1_sel:WORD_0
	global_load_dwordx4 v[40:43], v9, s[2:3]
	v_mul_u32_u24_sdwa v97, v97, v111 dst_sel:DWORD dst_unused:UNUSED_PAD src0_sel:WORD_0 src1_sel:DWORD
	v_mul_u32_u24_sdwa v98, v98, v111 dst_sel:DWORD dst_unused:UNUSED_PAD src0_sel:WORD_0 src1_sel:DWORD
	v_lshlrev_b32_sdwa v10, v91, v10 dst_sel:DWORD dst_unused:UNUSED_PAD src0_sel:DWORD src1_sel:WORD_0
	global_load_dwordx4 v[20:23], v8, s[2:3]
	v_lshlrev_b16 v9, 1, v95
	v_mul_u32_u24_sdwa v99, v99, v111 dst_sel:DWORD dst_unused:UNUSED_PAD src0_sel:WORD_0 src1_sel:DWORD
	v_mad_u16 v100, v100, 9, v105
	v_mad_u16 v105, v106, 9, v109
	;; [unrolled: 1-line block ×3, first 2 shown]
	v_lshlrev_b32_sdwa v8, v91, v9 dst_sel:DWORD dst_unused:UNUSED_PAD src0_sel:DWORD src1_sel:WORD_0
	v_mad_u16 v93, v108, 9, v93
	s_clause 0x1
	global_load_dwordx4 v[12:15], v10, s[2:3]
	global_load_dwordx4 v[8:11], v8, s[2:3]
	v_mad_u16 v95, v110, 9, v95
	v_add_lshl_u32 v142, v96, v101, 3
	v_add_lshl_u32 v141, v97, v102, 3
	;; [unrolled: 1-line block ×4, first 2 shown]
	buffer_store_dword v95, off, s[16:19], 0 offset:192 ; 4-byte Folded Spill
	v_lshlrev_b32_sdwa v138, v91, v100 dst_sel:DWORD dst_unused:UNUSED_PAD src0_sel:DWORD src1_sel:WORD_0
	v_lshlrev_b32_sdwa v137, v91, v105 dst_sel:DWORD dst_unused:UNUSED_PAD src0_sel:DWORD src1_sel:WORD_0
	;; [unrolled: 1-line block ×4, first 2 shown]
	s_waitcnt vmcnt(0) lgkmcnt(0)
	s_waitcnt_vscnt null, 0x0
	s_barrier
	buffer_gl0_inv
	buffer_store_dword v142, off, s[16:19], 0 offset:224 ; 4-byte Folded Spill
	v_mul_f32_e32 v95, v61, v49
	v_mul_f32_e32 v96, v60, v49
	;; [unrolled: 1-line block ×16, first 2 shown]
	v_fma_f32 v60, v60, v48, -v95
	v_fmac_f32_e32 v96, v61, v48
	v_fma_f32 v56, v56, v50, -v97
	v_fmac_f32_e32 v98, v57, v50
	;; [unrolled: 2-line block ×4, first 2 shown]
	v_mul_f32_e32 v111, v77, v45
	v_mul_f32_e32 v112, v76, v45
	;; [unrolled: 1-line block ×12, first 2 shown]
	v_fma_f32 v59, v52, v28, -v103
	v_fmac_f32_e32 v104, v53, v28
	v_fma_f32 v61, v80, v30, -v105
	v_fmac_f32_e32 v106, v81, v30
	v_fma_f32 v54, v54, v16, -v107
	v_mul_f32_e32 v123, v67, v13
	v_mul_f32_e32 v124, v66, v13
	;; [unrolled: 1-line block ×8, first 2 shown]
	v_fmac_f32_e32 v108, v55, v16
	v_fma_f32 v62, v82, v18, -v109
	v_fmac_f32_e32 v110, v83, v18
	v_fma_f32 v55, v76, v44, -v111
	;; [unrolled: 2-line block ×11, first 2 shown]
	v_fmac_f32_e32 v93, v85, v10
	v_add_f32_e32 v66, v0, v60
	v_add_f32_e32 v67, v60, v56
	;; [unrolled: 1-line block ×6, first 2 shown]
	v_sub_f32_e32 v83, v104, v106
	v_add_f32_e32 v84, v5, v104
	v_add_f32_e32 v85, v104, v106
	;; [unrolled: 1-line block ×5, first 2 shown]
	v_sub_f32_e32 v104, v112, v114
	v_add_f32_e32 v105, v33, v112
	v_add_f32_e32 v107, v112, v114
	;; [unrolled: 1-line block ×4, first 2 shown]
	v_sub_f32_e32 v112, v116, v118
	v_add_f32_e32 v113, v35, v116
	v_add_f32_e32 v115, v116, v118
	v_sub_f32_e32 v116, v72, v73
	v_add_f32_e32 v72, v24, v64
	v_add_f32_e32 v117, v64, v68
	v_sub_f32_e32 v119, v120, v122
	v_add_f32_e32 v121, v25, v120
	v_add_f32_e32 v120, v120, v122
	v_add_f32_e32 v125, v26, v65
	v_add_f32_e32 v127, v65, v69
	v_sub_f32_e32 v128, v124, v126
	v_add_f32_e32 v129, v27, v124
	v_add_f32_e32 v124, v124, v126
	;; [unrolled: 1-line block ×4, first 2 shown]
	v_sub_f32_e32 v71, v96, v98
	v_add_f32_e32 v70, v1, v96
	v_sub_f32_e32 v75, v60, v56
	v_add_f32_e32 v60, v2, v57
	;; [unrolled: 2-line block ×7, first 2 shown]
	v_sub_f32_e32 v108, v55, v63
	v_sub_f32_e32 v123, v64, v68
	;; [unrolled: 1-line block ×5, first 2 shown]
	v_add_f32_e32 v54, v66, v56
	v_fma_f32 v0, -0.5, v67, v0
	v_fma_f32 v1, -0.5, v74, v1
	v_fma_f32 v2, -0.5, v76, v2
	v_fmac_f32_e32 v3, -0.5, v79
	v_fma_f32 v4, -0.5, v82, v4
	v_fma_f32 v5, -0.5, v85, v5
	v_fma_f32 v6, -0.5, v95, v6
	v_fmac_f32_e32 v7, -0.5, v99
	;; [unrolled: 4-line block ×3, first 2 shown]
	v_add_f32_e32 v66, v72, v68
	v_fma_f32 v24, -0.5, v117, v24
	v_fma_f32 v25, -0.5, v120, v25
	v_add_f32_e32 v68, v125, v69
	v_fma_f32 v26, -0.5, v127, v26
	v_add_f32_e32 v69, v129, v126
	v_fmac_f32_e32 v27, -0.5, v124
	v_fma_f32 v126, -0.5, v131, v86
	v_fma_f32 v127, -0.5, v133, v87
	v_add_f32_e32 v55, v70, v98
	v_add_f32_e32 v56, v60, v58
	;; [unrolled: 1-line block ×6, first 2 shown]
	v_fmamk_f32 v70, v71, 0x3f5db3d7, v0
	v_fmac_f32_e32 v0, 0xbf5db3d7, v71
	v_fmamk_f32 v71, v75, 0xbf5db3d7, v1
	v_fmac_f32_e32 v1, 0x3f5db3d7, v75
	;; [unrolled: 2-line block ×18, first 2 shown]
	v_add_f32_e32 v60, v89, v62
	v_add_f32_e32 v61, v97, v110
	;; [unrolled: 1-line block ×6, first 2 shown]
	ds_write2_b64 v142, v[54:55], v[70:71] offset1:3
	ds_write_b64 v142, v[0:1] offset:48
	ds_write2_b64 v141, v[56:57], v[72:73] offset1:3
	buffer_store_dword v141, off, s[16:19], 0 offset:220 ; 4-byte Folded Spill
	ds_write_b64 v141, v[2:3] offset:48
	ds_write2_b64 v140, v[58:59], v[74:75] offset1:3
	buffer_store_dword v140, off, s[16:19], 0 offset:216 ; 4-byte Folded Spill
	;; [unrolled: 3-line block ×7, first 2 shown]
	ds_write_b64 v135, v[26:27] offset:48
	s_and_saveexec_b32 s0, vcc_lo
	s_cbranch_execz .LBB0_11
; %bb.10:
	buffer_load_dword v1, off, s[16:19], 0 offset:192 ; 4-byte Folded Reload
	v_add_f32_e32 v0, v87, v94
	v_add_f32_e32 v2, v86, v53
	s_waitcnt vmcnt(0)
	v_lshlrev_b32_sdwa v3, v91, v1 dst_sel:DWORD dst_unused:UNUSED_PAD src0_sel:DWORD src1_sel:WORD_0
	v_add_f32_e32 v1, v0, v93
	v_add_f32_e32 v0, v2, v52
	ds_write2_b64 v3, v[0:1], v[124:125] offset1:3
	ds_write_b64 v3, v[126:127] offset:48
.LBB0_11:
	s_or_b32 exec_lo, exec_lo, s0
	v_mul_lo_u16 v0, v92, 57
	v_mul_lo_u16 v1, v90, 57
	s_waitcnt lgkmcnt(0)
	s_waitcnt_vscnt null, 0x0
	s_barrier
	buffer_gl0_inv
	v_lshrrev_b16 v54, 9, v0
	v_lshrrev_b16 v52, 9, v1
	v_mov_b32_e32 v57, 0xe38f
	v_add_nc_u32_e32 v66, 0x400, v255
	v_mul_lo_u16 v63, v160, 57
	v_mul_lo_u16 v0, v54, 9
	;; [unrolled: 1-line block ×3, first 2 shown]
	v_mul_u32_u24_sdwa v58, v162, v57 dst_sel:DWORD dst_unused:UNUSED_PAD src0_sel:WORD_0 src1_sel:DWORD
	v_mul_lo_u16 v64, v159, 57
	v_add_nc_u32_e32 v56, 0x1000, v255
	v_sub_nc_u16 v0, v244, v0
	v_sub_nc_u16 v1, v158, v1
	v_add_nc_u32_e32 v62, 0x2400, v255
	v_add_nc_u32_e32 v57, 0x1800, v255
	v_lshrrev_b32_e32 v129, 19, v58
	v_and_b32_e32 v55, 0xff, v0
	v_and_b32_e32 v53, 0xff, v1
	v_lshrrev_b16 v130, 9, v63
	v_lshrrev_b16 v131, 9, v64
	v_mul_lo_u16 v70, v129, 9
	v_lshlrev_b32_e32 v0, 5, v55
	v_lshlrev_b32_e32 v1, 5, v53
	v_mul_lo_u16 v71, v130, 9
	v_mul_lo_u16 v72, v131, 9
	v_sub_nc_u16 v132, v162, v70
	s_clause 0x3
	global_load_dwordx4 v[32:35], v0, s[2:3] offset:48
	global_load_dwordx4 v[24:27], v1, s[2:3] offset:48
	;; [unrolled: 1-line block ×4, first 2 shown]
	ds_read2_b64 v[140:143], v66 offset0:124 offset1:187
	ds_read2_b64 v[58:61], v56 offset0:118 offset1:181
	;; [unrolled: 1-line block ×4, first 2 shown]
	v_sub_nc_u16 v74, v157, v71
	v_sub_nc_u16 v75, v156, v72
	ds_read2_b64 v[70:73], v255 offset1:63
	v_mov_b32_e32 v128, 45
	v_lshlrev_b16 v76, 5, v132
	v_and_b32_e32 v133, 0xff, v74
	v_and_b32_e32 v134, 0xff, v75
	ds_read_b64 v[98:99], v255 offset:12096
	v_mul_u32_u24_sdwa v54, v54, v128 dst_sel:DWORD dst_unused:UNUSED_PAD src0_sel:WORD_0 src1_sel:DWORD
	v_and_b32_e32 v74, 0xffff, v76
	v_add_nc_u32_e32 v155, 0x800, v255
	v_add_nc_u32_e32 v161, 0x1400, v255
	;; [unrolled: 1-line block ×3, first 2 shown]
	v_add_lshl_u32 v166, v54, v55, 3
	v_add_nc_u32_e32 v164, 0xc00, v255
	v_add_nc_u32_e32 v165, 0x2000, v255
	v_mul_u32_u24_sdwa v52, v52, v128 dst_sel:DWORD dst_unused:UNUSED_PAD src0_sel:WORD_0 src1_sel:DWORD
	s_waitcnt vmcnt(3) lgkmcnt(5)
	v_mul_f32_e32 v77, v143, v33
	v_mul_f32_e32 v144, v142, v33
	s_waitcnt lgkmcnt(4)
	v_mul_f32_e32 v54, v59, v35
	s_waitcnt vmcnt(1) lgkmcnt(3)
	v_mul_f32_e32 v75, v63, v7
	s_waitcnt lgkmcnt(2)
	v_mul_f32_e32 v78, v69, v5
	v_fma_f32 v142, v142, v32, -v77
	v_mul_f32_e32 v135, v58, v35
	v_mul_f32_e32 v137, v62, v7
	v_fmac_f32_e32 v144, v143, v32
	v_fma_f32 v145, v58, v34, -v54
	v_fma_f32 v147, v62, v6, -v75
	;; [unrolled: 1-line block ×3, first 2 shown]
	s_waitcnt lgkmcnt(1)
	v_add_f32_e32 v62, v70, v142
	v_mul_f32_e32 v139, v68, v5
	v_fmac_f32_e32 v135, v59, v34
	v_fmac_f32_e32 v137, v63, v6
	v_add_f32_e32 v63, v71, v144
	v_sub_f32_e32 v58, v142, v145
	v_sub_f32_e32 v59, v147, v149
	v_add_f32_e32 v62, v62, v145
	v_fmac_f32_e32 v139, v69, v4
	v_add_f32_e32 v63, v63, v135
	v_mul_f32_e32 v55, v61, v27
	v_mul_f32_e32 v136, v60, v27
	v_add_f32_e32 v153, v58, v59
	v_add_f32_e32 v58, v62, v149
	;; [unrolled: 1-line block ×3, first 2 shown]
	v_fma_f32 v146, v60, v26, -v55
	v_fmac_f32_e32 v136, v61, v26
	v_sub_f32_e32 v60, v144, v135
	v_sub_f32_e32 v61, v137, v139
	v_add_f32_e32 v96, v58, v147
	v_add_co_u32 v58, s0, s2, v74
	v_add_f32_e32 v97, v59, v137
	v_add_co_ci_u32_e64 v59, null, s3, 0, s0
	v_add_f32_e32 v154, v60, v61
	v_lshlrev_b32_e32 v61, 5, v133
	v_lshlrev_b32_e32 v62, 5, v134
	s_clause 0x5
	global_load_dwordx4 v[100:103], v[58:59], off offset:64
	global_load_dwordx4 v[112:115], v[58:59], off offset:48
	global_load_dwordx4 v[120:123], v61, s[2:3] offset:48
	global_load_dwordx4 v[108:111], v61, s[2:3] offset:64
	;; [unrolled: 1-line block ×4, first 2 shown]
	v_add_f32_e32 v54, v145, v149
	v_add_f32_e32 v55, v135, v139
	v_sub_f32_e32 v143, v144, v137
	v_sub_f32_e32 v150, v142, v147
	;; [unrolled: 1-line block ×3, first 2 shown]
	v_fma_f32 v54, -0.5, v54, v70
	v_fma_f32 v55, -0.5, v55, v71
	v_sub_f32_e32 v152, v145, v149
	s_waitcnt vmcnt(6)
	v_mul_f32_e32 v76, v65, v3
	v_mul_f32_e32 v138, v64, v3
	v_fmamk_f32 v68, v143, 0x3f737871, v54
	v_fmamk_f32 v69, v150, 0xbf737871, v55
	v_add_nc_u32_e32 v60, 0x1c00, v255
	v_fma_f32 v148, v64, v2, -v76
	v_fmac_f32_e32 v138, v65, v2
	v_fmac_f32_e32 v68, 0x3f167918, v151
	;; [unrolled: 1-line block ×3, first 2 shown]
	ds_read2_b64 v[58:61], v60 offset0:112 offset1:175
	ds_read2_b64 v[62:65], v255 offset0:126 offset1:189
	;; [unrolled: 1-line block ×7, first 2 shown]
	s_waitcnt vmcnt(0) lgkmcnt(0)
	s_barrier
	v_fmac_f32_e32 v68, 0x3e9e377a, v153
	v_fmac_f32_e32 v69, 0x3e9e377a, v154
	buffer_gl0_inv
	v_fmac_f32_e32 v54, 0xbf737871, v143
	v_fmac_f32_e32 v55, 0x3f737871, v150
	buffer_store_dword v166, off, s[16:19], 0 offset:260 ; 4-byte Folded Spill
	ds_write2_b64 v166, v[96:97], v[68:69] offset1:9
	v_sub_f32_e32 v68, v145, v142
	v_sub_f32_e32 v69, v149, v147
	v_add_f32_e32 v96, v142, v147
	v_sub_f32_e32 v97, v135, v144
	v_add_f32_e32 v135, v144, v137
	;; [unrolled: 2-line block ×3, first 2 shown]
	v_fma_f32 v68, -0.5, v96, v70
	v_fmac_f32_e32 v54, 0xbf167918, v151
	v_fma_f32 v69, -0.5, v135, v71
	v_add_f32_e32 v96, v97, v137
	v_add_lshl_u32 v137, v52, v53, 3
	v_fmamk_f32 v70, v151, 0xbf737871, v68
	v_fmac_f32_e32 v68, 0x3f737871, v151
	v_fmamk_f32 v71, v152, 0x3f737871, v69
	v_fmac_f32_e32 v69, 0xbf737871, v152
	v_mul_f32_e32 v52, v59, v1
	v_fmac_f32_e32 v70, 0x3f167918, v143
	v_fmac_f32_e32 v68, 0xbf167918, v143
	;; [unrolled: 1-line block ×11, first 2 shown]
	buffer_store_dword v137, off, s[16:19], 0 offset:264 ; 4-byte Folded Spill
	v_cmp_gt_u16_e64 s0, 36, v244
	ds_write2_b64 v166, v[70:71], v[68:69] offset0:18 offset1:27
	v_fma_f32 v68, v58, v0, -v52
	v_mul_f32_e32 v52, v75, v25
	v_mul_f32_e32 v58, v58, v1
	ds_write_b64 v166, v[54:55] offset:288
	v_sub_f32_e32 v54, v68, v148
	v_fma_f32 v69, v74, v24, -v52
	v_add_f32_e32 v52, v146, v68
	v_fmac_f32_e32 v58, v59, v0
	v_mul_f32_e32 v59, v74, v25
	v_sub_f32_e32 v97, v146, v68
	v_add_f32_e32 v53, v69, v148
	v_add_f32_e32 v70, v72, v69
	v_fma_f32 v52, -0.5, v52, v72
	v_fmac_f32_e32 v59, v75, v24
	v_sub_f32_e32 v74, v58, v138
	v_fma_f32 v72, -0.5, v53, v72
	v_sub_f32_e32 v53, v146, v69
	v_sub_f32_e32 v75, v136, v58
	v_add_f32_e32 v71, v73, v59
	v_sub_f32_e32 v96, v59, v138
	v_sub_f32_e32 v135, v69, v148
	v_add_f32_e32 v55, v53, v54
	v_add_f32_e32 v53, v136, v58
	;; [unrolled: 1-line block ×3, first 2 shown]
	v_sub_f32_e32 v69, v69, v146
	v_fma_f32 v53, -0.5, v53, v73
	v_fmac_f32_e32 v73, -0.5, v54
	v_sub_f32_e32 v54, v136, v59
	v_sub_f32_e32 v59, v59, v136
	v_add_f32_e32 v74, v54, v74
	v_fmamk_f32 v54, v75, 0xbf737871, v72
	v_fmac_f32_e32 v72, 0x3f737871, v75
	v_fmac_f32_e32 v54, 0x3f167918, v96
	;; [unrolled: 1-line block ×5, first 2 shown]
	v_fmamk_f32 v55, v97, 0x3f737871, v73
	v_fmac_f32_e32 v73, 0xbf737871, v97
	v_fmac_f32_e32 v55, 0xbf167918, v135
	;; [unrolled: 1-line block ×5, first 2 shown]
	ds_write2_b64 v137, v[54:55], v[72:73] offset0:18 offset1:27
	v_add_f32_e32 v55, v71, v136
	v_add_f32_e32 v55, v55, v58
	v_sub_f32_e32 v58, v138, v58
	v_add_f32_e32 v55, v55, v138
	v_mul_f32_e32 v54, v77, v121
	v_mul_f32_e32 v73, v76, v121
	v_fma_f32 v72, v76, v120, -v54
	v_mul_f32_e32 v54, v61, v109
	v_fmac_f32_e32 v73, v77, v120
	v_mul_f32_e32 v76, v78, v123
	v_fma_f32 v74, v60, v108, -v54
	v_mul_f32_e32 v60, v60, v109
	v_mul_f32_e32 v54, v79, v123
	v_fmac_f32_e32 v76, v79, v122
	v_fmac_f32_e32 v60, v61, v108
	v_fma_f32 v61, v78, v122, -v54
	v_mul_f32_e32 v54, v81, v119
	v_mul_f32_e32 v78, v80, v119
	v_fma_f32 v77, v80, v118, -v54
	v_mul_f32_e32 v54, v83, v111
	v_fmac_f32_e32 v78, v81, v118
	v_mul_f32_e32 v80, v82, v111
	v_fma_f32 v79, v82, v110, -v54
	v_mul_f32_e32 v54, v85, v107
	v_fmac_f32_e32 v80, v83, v110
	v_mul_f32_e32 v82, v84, v107
	v_sub_f32_e32 v83, v61, v74
	v_sub_f32_e32 v71, v72, v79
	v_fma_f32 v81, v84, v106, -v54
	v_add_f32_e32 v54, v70, v146
	v_sub_f32_e32 v70, v73, v80
	v_fmac_f32_e32 v82, v85, v106
	v_add_f32_e32 v54, v54, v68
	v_sub_f32_e32 v68, v148, v68
	v_add_f32_e32 v54, v54, v148
	v_add_f32_e32 v68, v69, v68
	;; [unrolled: 1-line block ×3, first 2 shown]
	v_fmamk_f32 v58, v96, 0x3f737871, v52
	v_fmamk_f32 v59, v135, 0xbf737871, v53
	v_fmac_f32_e32 v52, 0xbf737871, v96
	v_fmac_f32_e32 v53, 0x3f737871, v135
	;; [unrolled: 1-line block ×6, first 2 shown]
	v_sub_f32_e32 v75, v76, v60
	v_fmac_f32_e32 v58, 0x3e9e377a, v68
	v_fmac_f32_e32 v59, 0x3e9e377a, v69
	;; [unrolled: 1-line block ×4, first 2 shown]
	ds_write2_b64 v137, v[54:55], v[58:59] offset1:9
	v_sub_f32_e32 v54, v73, v76
	ds_write_b64 v137, v[52:53] offset:288
	v_mul_u32_u24_sdwa v52, v130, v128 dst_sel:DWORD dst_unused:UNUSED_PAD src0_sel:WORD_0 src1_sel:DWORD
	v_sub_f32_e32 v53, v79, v74
	v_sub_f32_e32 v55, v80, v60
	v_add_lshl_u32 v84, v52, v133, 3
	v_sub_f32_e32 v52, v72, v61
	v_add_f32_e32 v69, v54, v55
	v_add_f32_e32 v54, v62, v72
	;; [unrolled: 1-line block ×3, first 2 shown]
	buffer_store_dword v84, off, s[16:19], 0 offset:268 ; 4-byte Folded Spill
	v_add_f32_e32 v68, v52, v53
	v_add_f32_e32 v52, v61, v74
	;; [unrolled: 1-line block ×5, first 2 shown]
	v_fma_f32 v52, -0.5, v52, v62
	v_fma_f32 v53, -0.5, v53, v63
	v_add_f32_e32 v54, v54, v74
	v_add_f32_e32 v55, v55, v60
	v_sub_f32_e32 v60, v60, v80
	v_fmamk_f32 v58, v70, 0x3f737871, v52
	v_fmamk_f32 v59, v71, 0xbf737871, v53
	v_add_f32_e32 v54, v54, v79
	v_add_f32_e32 v55, v55, v80
	v_fmac_f32_e32 v52, 0xbf737871, v70
	v_fmac_f32_e32 v58, 0x3f167918, v75
	;; [unrolled: 1-line block ×9, first 2 shown]
	ds_write2_b64 v84, v[54:55], v[58:59] offset1:9
	v_sub_f32_e32 v54, v61, v72
	v_sub_f32_e32 v55, v74, v79
	v_add_f32_e32 v58, v72, v79
	v_add_f32_e32 v61, v73, v80
	v_sub_f32_e32 v59, v76, v73
	v_fmac_f32_e32 v53, 0x3e9e377a, v69
	v_add_f32_e32 v72, v54, v55
	v_fma_f32 v54, -0.5, v58, v62
	v_fma_f32 v55, -0.5, v61, v63
	v_add_f32_e32 v60, v59, v60
	ds_write_b64 v84, v[52:53] offset:288
	v_mul_u32_u24_sdwa v52, v131, v128 dst_sel:DWORD dst_unused:UNUSED_PAD src0_sel:WORD_0 src1_sel:DWORD
	v_fmamk_f32 v58, v75, 0xbf737871, v54
	v_fmac_f32_e32 v54, 0x3f737871, v75
	v_fmamk_f32 v59, v83, 0x3f737871, v55
	v_fmac_f32_e32 v55, 0xbf737871, v83
	v_add_lshl_u32 v74, v52, v134, 3
	v_fmac_f32_e32 v58, 0x3f167918, v70
	v_fmac_f32_e32 v54, 0xbf167918, v70
	;; [unrolled: 1-line block ×4, first 2 shown]
	v_mul_f32_e32 v52, v93, v105
	v_fmac_f32_e32 v58, 0x3e9e377a, v72
	v_fmac_f32_e32 v54, 0x3e9e377a, v72
	;; [unrolled: 1-line block ×4, first 2 shown]
	v_mul_f32_e32 v61, v92, v105
	v_mul_f32_e32 v62, v86, v117
	;; [unrolled: 1-line block ×3, first 2 shown]
	buffer_store_dword v74, off, s[16:19], 0 offset:272 ; 4-byte Folded Spill
	ds_write2_b64 v84, v[58:59], v[54:55] offset0:18 offset1:27
	v_fma_f32 v58, v92, v104, -v52
	v_mul_f32_e32 v52, v87, v117
	v_fmac_f32_e32 v61, v93, v104
	v_fmac_f32_e32 v62, v87, v116
	;; [unrolled: 1-line block ×3, first 2 shown]
	v_sub_f32_e32 v54, v58, v81
	v_fma_f32 v59, v86, v116, -v52
	v_add_f32_e32 v52, v77, v58
	v_add_f32_e32 v63, v65, v62
	v_sub_f32_e32 v68, v61, v82
	v_sub_f32_e32 v69, v78, v61
	v_add_f32_e32 v53, v59, v81
	v_add_f32_e32 v60, v64, v59
	v_fma_f32 v52, -0.5, v52, v64
	v_sub_f32_e32 v70, v62, v82
	v_sub_f32_e32 v71, v77, v58
	v_fma_f32 v64, -0.5, v53, v64
	v_sub_f32_e32 v53, v77, v59
	v_sub_f32_e32 v72, v59, v81
	;; [unrolled: 1-line block ×3, first 2 shown]
	v_add_f32_e32 v55, v53, v54
	v_add_f32_e32 v53, v78, v61
	;; [unrolled: 1-line block ×3, first 2 shown]
	v_fma_f32 v53, -0.5, v53, v65
	v_fmac_f32_e32 v65, -0.5, v54
	v_sub_f32_e32 v54, v78, v62
	v_add_f32_e32 v68, v54, v68
	v_fmamk_f32 v54, v69, 0xbf737871, v64
	v_fmac_f32_e32 v64, 0x3f737871, v69
	v_fmac_f32_e32 v54, 0x3f167918, v70
	;; [unrolled: 1-line block ×5, first 2 shown]
	v_fmamk_f32 v55, v71, 0x3f737871, v65
	v_fmac_f32_e32 v65, 0xbf737871, v71
	v_fmac_f32_e32 v55, 0xbf167918, v72
	;; [unrolled: 1-line block ×5, first 2 shown]
	ds_write2_b64 v74, v[54:55], v[64:65] offset0:18 offset1:27
	v_mul_f32_e32 v54, v89, v113
	v_add_f32_e32 v55, v63, v78
	v_mul_f32_e32 v65, v88, v113
	v_fma_f32 v64, v88, v112, -v54
	v_mul_f32_e32 v54, v67, v115
	v_add_f32_e32 v55, v55, v61
	v_sub_f32_e32 v61, v82, v61
	v_fmac_f32_e32 v65, v89, v112
	v_fma_f32 v68, v66, v114, -v54
	v_mul_f32_e32 v66, v66, v115
	v_mul_f32_e32 v54, v95, v101
	v_add_f32_e32 v55, v55, v82
	v_fmac_f32_e32 v66, v67, v114
	v_fma_f32 v67, v94, v100, -v54
	v_add_f32_e32 v54, v60, v77
	v_sub_f32_e32 v60, v62, v78
	v_add_f32_e32 v54, v54, v58
	v_sub_f32_e32 v58, v81, v58
	v_add_f32_e32 v60, v60, v61
	v_add_f32_e32 v61, v66, v73
	;; [unrolled: 1-line block ×4, first 2 shown]
	v_fmamk_f32 v58, v70, 0x3f737871, v52
	v_fmamk_f32 v59, v72, 0xbf737871, v53
	v_fmac_f32_e32 v52, 0xbf737871, v70
	v_fmac_f32_e32 v53, 0x3f737871, v72
	v_fma_f32 v143, -0.5, v61, v141
	v_fmac_f32_e32 v58, 0x3f167918, v69
	v_fmac_f32_e32 v59, 0xbf167918, v71
	v_mad_u16 v61, v129, 45, v132
	v_fmac_f32_e32 v52, 0xbf167918, v69
	v_fmac_f32_e32 v53, 0x3f167918, v71
	;; [unrolled: 1-line block ×4, first 2 shown]
	v_lshlrev_b32_sdwa v69, v91, v61 dst_sel:DWORD dst_unused:UNUSED_PAD src0_sel:DWORD src1_sel:WORD_0
	v_fmac_f32_e32 v52, 0x3e9e377a, v62
	v_fmac_f32_e32 v53, 0x3e9e377a, v60
	v_sub_f32_e32 v62, v65, v66
	ds_write2_b64 v74, v[54:55], v[58:59] offset1:9
	v_mul_f32_e32 v54, v99, v103
	v_mul_f32_e32 v59, v98, v103
	v_fma_f32 v58, v98, v102, -v54
	v_add_f32_e32 v54, v68, v67
	v_fmac_f32_e32 v59, v99, v102
	v_sub_f32_e32 v55, v58, v67
	v_fma_f32 v142, -0.5, v54, v140
	v_sub_f32_e32 v54, v64, v68
	v_add_f32_e32 v61, v64, v58
	v_sub_f32_e32 v63, v59, v73
	v_add_f32_e32 v60, v54, v55
	v_add_f32_e32 v54, v140, v64
	v_fma_f32 v140, -0.5, v61, v140
	v_sub_f32_e32 v61, v65, v59
	v_add_f32_e32 v62, v62, v63
	v_sub_f32_e32 v63, v66, v73
	v_add_f32_e32 v55, v141, v65
	v_add_f32_e32 v54, v54, v68
	v_fmamk_f32 v128, v61, 0x3f737871, v142
	v_fmac_f32_e32 v142, 0xbf737871, v61
	v_fmamk_f32 v130, v63, 0xbf737871, v140
	v_add_f32_e32 v55, v55, v66
	v_fmac_f32_e32 v140, 0x3f737871, v63
	v_fmac_f32_e32 v128, 0x3f167918, v63
	;; [unrolled: 1-line block ×3, first 2 shown]
	v_sub_f32_e32 v63, v66, v65
	v_add_f32_e32 v65, v65, v59
	v_add_f32_e32 v54, v54, v67
	v_fmac_f32_e32 v128, 0x3e9e377a, v60
	v_fmac_f32_e32 v142, 0x3e9e377a, v60
	v_sub_f32_e32 v60, v64, v58
	v_add_f32_e32 v55, v55, v73
	v_sub_f32_e32 v64, v68, v64
	v_sub_f32_e32 v68, v68, v67
	v_fmac_f32_e32 v141, -0.5, v65
	v_fmamk_f32 v129, v60, 0xbf737871, v143
	v_fmac_f32_e32 v143, 0x3f737871, v60
	v_add_f32_e32 v54, v54, v58
	v_add_f32_e32 v55, v55, v59
	v_sub_f32_e32 v58, v67, v58
	v_sub_f32_e32 v59, v73, v59
	v_fmamk_f32 v131, v68, 0x3f737871, v141
	v_fmac_f32_e32 v141, 0xbf737871, v68
	v_fmac_f32_e32 v143, 0x3f167918, v68
	;; [unrolled: 1-line block ×3, first 2 shown]
	v_add_f32_e32 v58, v64, v58
	v_fmac_f32_e32 v130, 0x3f167918, v61
	v_fmac_f32_e32 v140, 0xbf167918, v61
	v_add_f32_e32 v59, v63, v59
	v_fmac_f32_e32 v131, 0xbf167918, v60
	v_fmac_f32_e32 v141, 0x3f167918, v60
	;; [unrolled: 1-line block ×8, first 2 shown]
	ds_write_b64 v74, v[52:53] offset:288
	ds_write2_b64 v69, v[54:55], v[128:129] offset1:9
	ds_write2_b64 v69, v[130:131], v[140:141] offset0:18 offset1:27
	buffer_store_dword v69, off, s[16:19], 0 offset:276 ; 4-byte Folded Spill
	ds_write_b64 v69, v[142:143] offset:288
	s_waitcnt lgkmcnt(0)
	s_waitcnt_vscnt null, 0x0
	s_barrier
	buffer_gl0_inv
	ds_read_b64 v[152:153], v255 offset:11808
                                        ; implicit-def: $vgpr154
	ds_read2_b64 v[68:71], v164 offset0:66 offset1:129
	ds_read2_b64 v[144:147], v56 offset0:64 offset1:163
	;; [unrolled: 1-line block ×8, first 2 shown]
	ds_read2_b64 v[136:139], v255 offset1:63
	ds_read2_b64 v[132:135], v255 offset0:126 offset1:225
	s_and_saveexec_b32 s1, s0
	s_cbranch_execz .LBB0_13
; %bb.12:
	v_add_nc_u32_e32 v52, 0x500, v255
	v_add_nc_u32_e32 v53, 0x1380, v255
	;; [unrolled: 1-line block ×3, first 2 shown]
	ds_read2_b64 v[128:131], v52 offset0:29 offset1:254
	ds_read2_b64 v[140:143], v53 offset0:15 offset1:240
	;; [unrolled: 1-line block ×3, first 2 shown]
	ds_read_b64 v[154:155], v255 offset:12312
.LBB0_13:
	s_or_b32 exec_lo, exec_lo, s1
	v_subrev_nc_u32_e32 v52, 45, v244
	v_cmp_gt_u16_e64 s1, 45, v244
	v_mul_lo_u16 v62, 0x6d, v90
	v_cndmask_b32_e64 v163, v52, v244, s1
	v_lshrrev_b16 v62, 8, v62
	v_mul_i32_i24_e32 v52, 48, v163
	v_mul_hi_i32_i24_e32 v53, 48, v163
	v_sub_nc_u16 v63, v158, v62
	v_add_co_u32 v52, s1, s2, v52
	v_add_co_ci_u32_e64 v53, s1, s3, v53, s1
	v_lshrrev_b16 v63, 1, v63
	v_cmp_lt_u16_e64 s1, 44, v244
	s_clause 0x1
	global_load_dwordx4 v[64:67], v[52:53], off offset:336
	global_load_dwordx4 v[84:87], v[52:53], off offset:352
	v_and_b32_e32 v63, 0x7f, v63
	v_add_nc_u16 v62, v63, v62
	v_lshrrev_b16 v161, 5, v62
	v_mul_lo_u16 v62, v161, 45
	v_sub_nc_u16 v62, v158, v62
	v_and_b32_e32 v165, 0xff, v62
	s_waitcnt vmcnt(1) lgkmcnt(9)
	v_mul_f32_e32 v63, v69, v67
	v_mul_f32_e32 v180, v68, v67
	s_waitcnt vmcnt(0) lgkmcnt(7)
	v_mul_f32_e32 v186, v80, v87
	v_mul_f32_e32 v192, v146, v85
	s_waitcnt lgkmcnt(0)
	v_mul_f32_e32 v195, v134, v65
	v_fma_f32 v179, v68, v66, -v63
	v_mad_u64_u32 v[62:63], null, v165, 48, s[2:3]
	v_fmac_f32_e32 v180, v69, v66
	v_fmac_f32_e32 v186, v81, v86
	;; [unrolled: 1-line block ×3, first 2 shown]
	s_clause 0x1
	global_load_dwordx4 v[92:95], v[52:53], off offset:368
	global_load_dwordx4 v[88:91], v[62:63], off offset:336
	v_fmac_f32_e32 v195, v135, v64
	v_add_f32_e32 v202, v192, v186
	s_waitcnt vmcnt(1)
	v_mul_f32_e32 v188, v76, v95
	s_waitcnt vmcnt(0)
	v_mul_f32_e32 v52, v71, v91
	v_mul_f32_e32 v167, v70, v91
	;; [unrolled: 1-line block ×4, first 2 shown]
	v_fmac_f32_e32 v188, v77, v94
	v_fma_f32 v166, v70, v90, -v52
	v_fmac_f32_e32 v167, v71, v90
	s_clause 0x1
	global_load_dwordx4 v[72:75], v[62:63], off offset:352
	global_load_dwordx4 v[68:71], v[62:63], off offset:368
	v_mul_f32_e32 v52, v81, v87
	v_fmac_f32_e32 v177, v149, v88
	v_fmac_f32_e32 v194, v61, v92
	v_add_f32_e32 v200, v195, v188
	v_fma_f32 v185, v80, v86, -v52
	v_add_f32_e32 v201, v180, v194
	v_sub_f32_e32 v180, v180, v194
	s_waitcnt vmcnt(1)
	v_mul_f32_e32 v52, v83, v75
	v_mul_f32_e32 v173, v82, v75
	s_waitcnt vmcnt(0)
	v_mul_f32_e32 v175, v78, v71
	v_mul_f32_e32 v184, v96, v73
	v_mul_f32_e32 v190, v54, v69
	v_fma_f32 v172, v82, v74, -v52
	v_mul_f32_e32 v52, v77, v95
	v_fmac_f32_e32 v173, v83, v74
	v_fmac_f32_e32 v175, v79, v70
	v_fmac_f32_e32 v184, v97, v72
	v_fmac_f32_e32 v190, v55, v68
	v_fma_f32 v187, v76, v94, -v52
	v_mul_f32_e32 v52, v79, v71
	v_add_f32_e32 v208, v177, v175
	v_add_f32_e32 v210, v184, v173
	;; [unrolled: 1-line block ×3, first 2 shown]
	v_fma_f32 v174, v78, v70, -v52
	v_mul_lo_u16 v52, 0x6d, v160
	v_lshrrev_b16 v52, 8, v52
	v_sub_nc_u16 v53, v157, v52
	v_lshrrev_b16 v53, 1, v53
	v_and_b32_e32 v53, 0x7f, v53
	v_add_nc_u16 v52, v53, v52
	v_lshrrev_b16 v160, 5, v52
	v_mul_lo_u16 v52, v160, 45
	v_sub_nc_u16 v52, v157, v52
	v_and_b32_e32 v164, 0xff, v52
	v_mul_f32_e32 v52, v149, v89
	v_fma_f32 v176, v148, v88, -v52
	v_mad_u64_u32 v[52:53], null, v164, 48, s[2:3]
	s_clause 0x1
	global_load_dwordx4 v[76:79], v[52:53], off offset:336
	global_load_dwordx4 v[80:83], v[52:53], off offset:352
	v_add_f32_e32 v204, v176, v174
	s_waitcnt vmcnt(1)
	v_mul_f32_e32 v62, v151, v77
	v_mul_f32_e32 v149, v150, v77
	s_waitcnt vmcnt(0)
	v_mul_f32_e32 v171, v58, v83
	v_mul_f32_e32 v169, v98, v81
	v_fma_f32 v148, v150, v76, -v62
	v_mul_f32_e32 v62, v147, v85
	v_fmac_f32_e32 v171, v59, v82
	v_fmac_f32_e32 v149, v151, v76
	v_mul_f32_e32 v151, v144, v79
	v_fmac_f32_e32 v169, v99, v80
	v_fma_f32 v191, v146, v84, -v62
	v_mul_f32_e32 v62, v145, v79
	v_fmac_f32_e32 v151, v145, v78
	v_add_f32_e32 v226, v169, v171
	v_add_f32_e32 v198, v191, v185
	v_fma_f32 v150, v144, v78, -v62
	v_mul_f32_e32 v62, v97, v73
	v_fma_f32 v181, v96, v72, -v62
	v_mul_f32_e32 v62, v99, v81
	v_add_f32_e32 v206, v181, v172
	v_fma_f32 v168, v98, v80, -v62
	v_mul_f32_e32 v62, v61, v93
	global_load_dwordx4 v[96:99], v[52:53], off offset:368
	v_fma_f32 v193, v60, v92, -v62
	v_mul_f32_e32 v60, v59, v83
	v_add_f32_e32 v197, v179, v193
	v_fma_f32 v170, v58, v82, -v60
	v_mul_lo_u16 v58, 0x6d, v159
	v_sub_f32_e32 v179, v179, v193
	v_add_f32_e32 v222, v168, v170
	v_lshrrev_b16 v58, 8, v58
	v_sub_nc_u16 v59, v156, v58
	v_lshrrev_b16 v59, 1, v59
	v_and_b32_e32 v59, 0x7f, v59
	v_add_nc_u16 v58, v59, v58
	v_lshrrev_b16 v58, 5, v58
	v_mul_lo_u16 v58, v58, 45
	v_sub_nc_u16 v59, v156, v58
	v_mul_f32_e32 v58, v55, v69
	v_and_b32_e32 v144, 0xff, v59
	v_fma_f32 v189, v54, v68, -v58
	buffer_store_dword v59, off, s[16:19], 0 offset:284 ; 4-byte Folded Spill
	v_mad_u64_u32 v[60:61], null, v144, 48, s[2:3]
	v_add_f32_e32 v205, v166, v189
	global_load_dwordx4 v[52:55], v[60:61], off offset:336
	s_waitcnt vmcnt(1)
	v_mul_f32_e32 v58, v57, v97
	v_mul_f32_e32 v178, v56, v97
	v_fma_f32 v159, v56, v96, -v58
	v_fmac_f32_e32 v178, v57, v96
	v_add_f32_e32 v225, v151, v178
	s_waitcnt vmcnt(0)
	v_mul_f32_e32 v56, v141, v55
	v_mul_f32_e32 v229, v130, v53
	v_fma_f32 v145, v140, v54, -v56
	s_clause 0x1
	global_load_dwordx4 v[56:59], v[60:61], off offset:352
	global_load_dwordx4 v[60:63], v[60:61], off offset:368
	v_mul_f32_e32 v140, v140, v55
	v_fmac_f32_e32 v229, v131, v52
	s_waitcnt vmcnt(0)
	s_waitcnt_vscnt null, 0x0
	s_barrier
	buffer_gl0_inv
	v_fmac_f32_e32 v140, v141, v54
	v_mul_f32_e32 v141, v143, v57
	v_mul_f32_e32 v146, v124, v59
	v_fma_f32 v141, v142, v56, -v141
	v_mul_f32_e32 v142, v142, v57
	v_fmac_f32_e32 v146, v125, v58
	v_fmac_f32_e32 v142, v143, v56
	v_mul_f32_e32 v143, v125, v59
	v_add_f32_e32 v238, v142, v146
	v_fma_f32 v143, v124, v58, -v143
	v_mul_f32_e32 v124, v127, v61
	v_add_f32_e32 v231, v141, v143
	v_fma_f32 v147, v126, v60, -v124
	v_mul_f32_e32 v126, v126, v61
	v_mul_f32_e32 v124, v135, v65
	v_add_f32_e32 v230, v145, v147
	v_fmac_f32_e32 v126, v127, v60
	v_fma_f32 v127, v134, v64, -v124
	v_add_f32_e32 v237, v140, v126
	v_add_f32_e32 v196, v127, v187
	v_sub_f32_e32 v126, v140, v126
	v_add_f32_e32 v124, v197, v196
	v_add_f32_e32 v199, v198, v124
	;; [unrolled: 1-line block ×11, first 2 shown]
	v_mul_f32_e32 v124, v153, v99
	v_add_f32_e32 v137, v139, v211
	v_fma_f32 v138, v152, v98, -v124
	v_mul_f32_e32 v139, v152, v99
	v_add_f32_e32 v152, v148, v138
	v_fmac_f32_e32 v139, v153, v98
	v_add_f32_e32 v153, v150, v159
	v_add_f32_e32 v224, v149, v139
	;; [unrolled: 1-line block ×7, first 2 shown]
	v_mul_f32_e32 v124, v155, v63
	v_add_f32_e32 v133, v133, v227
	v_fma_f32 v228, v154, v62, -v124
	v_mul_f32_e32 v154, v154, v63
	v_mul_f32_e32 v124, v131, v53
	v_fmac_f32_e32 v154, v155, v62
	v_fma_f32 v155, v130, v52, -v124
	v_sub_f32_e32 v130, v127, v187
	v_sub_f32_e32 v127, v196, v198
	;; [unrolled: 1-line block ×3, first 2 shown]
	v_add_f32_e32 v236, v229, v154
	v_add_f32_e32 v131, v155, v228
	;; [unrolled: 1-line block ×7, first 2 shown]
	v_cndmask_b32_e64 v128, 0, 0x13b, s1
	v_add_f32_e32 v125, v129, v239
	v_sub_f32_e32 v129, v186, v192
	v_add_lshl_u32 v232, v163, v128, 3
	v_sub_f32_e32 v128, v185, v191
	v_sub_f32_e32 v163, v195, v188
	;; [unrolled: 1-line block ×6, first 2 shown]
	v_mul_f32_e32 v195, 0x3f4a47b2, v127
	v_add_f32_e32 v188, v128, v179
	v_sub_f32_e32 v192, v130, v128
	v_add_f32_e32 v128, v129, v180
	v_sub_f32_e32 v129, v163, v129
	v_mul_f32_e32 v191, 0xbf08b237, v191
	v_mul_f32_e32 v186, 0x3f4a47b2, v186
	v_mul_f32_e32 v193, 0xbf08b237, v193
	v_fmamk_f32 v198, v199, 0xbf955555, v134
	v_fmamk_f32 v127, v185, 0x3d64c772, v195
	v_add_f32_e32 v188, v188, v130
	v_add_f32_e32 v194, v128, v163
	v_fmamk_f32 v199, v203, 0xbf955555, v135
	v_fmamk_f32 v202, v192, 0x3eae86e6, v191
	;; [unrolled: 1-line block ×3, first 2 shown]
	v_add_f32_e32 v233, v127, v198
	v_fmamk_f32 v127, v187, 0x3d64c772, v186
	v_sub_f32_e32 v130, v179, v130
	v_fmac_f32_e32 v202, 0x3ee1c552, v188
	v_fmac_f32_e32 v203, 0x3ee1c552, v194
	v_add_f32_e32 v234, v127, v199
	v_add_f32_e32 v127, v203, v233
	v_sub_f32_e32 v128, v234, v202
	ds_write2_b64 v232, v[134:135], v[127:128] offset1:45
	v_sub_f32_e32 v134, v180, v163
	v_fma_f32 v163, 0x3f5ff5aa, v130, -v191
	v_mul_f32_e32 v130, 0x3f5ff5aa, v130
	v_sub_f32_e32 v127, v197, v196
	v_sub_f32_e32 v128, v201, v200
	v_mul_f32_e32 v135, 0x3d64c772, v185
	v_fma_f32 v180, 0x3f5ff5aa, v134, -v193
	v_fma_f32 v179, 0xbeae86e6, v192, -v130
	v_mul_f32_e32 v130, 0x3f5ff5aa, v134
	v_fmac_f32_e32 v163, 0x3ee1c552, v188
	v_fma_f32 v135, 0x3f3bfb3b, v127, -v135
	v_fma_f32 v127, 0xbf3bfb3b, v127, -v195
	v_fmac_f32_e32 v179, 0x3ee1c552, v188
	v_fma_f32 v134, 0xbeae86e6, v129, -v130
	v_mul_f32_e32 v129, 0x3d64c772, v187
	v_fmac_f32_e32 v180, 0x3ee1c552, v194
	v_add_f32_e32 v135, v135, v198
	v_add_f32_e32 v185, v127, v198
	v_fmac_f32_e32 v134, 0x3ee1c552, v194
	v_fma_f32 v129, 0x3f3bfb3b, v128, -v129
	v_fma_f32 v128, 0xbf3bfb3b, v128, -v186
	v_add_f32_e32 v127, v134, v185
	v_add_f32_e32 v187, v129, v199
	;; [unrolled: 1-line block ×3, first 2 shown]
	v_sub_f32_e32 v129, v135, v180
	v_add_f32_e32 v130, v163, v187
	v_sub_f32_e32 v128, v186, v179
	ds_write2_b64 v232, v[127:128], v[129:130] offset0:90 offset1:135
	v_add_f32_e32 v127, v180, v135
	v_sub_f32_e32 v128, v187, v163
	v_sub_f32_e32 v129, v185, v134
	v_add_f32_e32 v130, v179, v186
	v_mov_b32_e32 v134, 0x13b
	v_sub_f32_e32 v135, v166, v189
	v_sub_f32_e32 v163, v204, v206
	;; [unrolled: 1-line block ×3, first 2 shown]
	ds_write2_b64 v232, v[127:128], v[129:130] offset0:180 offset1:225
	v_sub_f32_e32 v127, v233, v203
	v_add_f32_e32 v128, v202, v234
	v_sub_f32_e32 v129, v176, v174
	v_sub_f32_e32 v130, v177, v175
	v_mul_f32_e32 v163, 0x3f4a47b2, v163
	v_mul_f32_e32 v166, 0x3f4a47b2, v166
	ds_write_b64 v232, v[127:128] offset:2160
	v_mul_u32_u24_sdwa v127, v161, v134 dst_sel:DWORD dst_unused:UNUSED_PAD src0_sel:WORD_0 src1_sel:DWORD
	v_sub_f32_e32 v161, v167, v190
	v_sub_f32_e32 v128, v173, v184
	;; [unrolled: 1-line block ×3, first 2 shown]
	v_fmamk_f32 v179, v207, 0xbf955555, v136
	v_add_lshl_u32 v233, v127, v165, 3
	v_sub_f32_e32 v127, v172, v181
	v_sub_f32_e32 v165, v206, v205
	;; [unrolled: 1-line block ×4, first 2 shown]
	v_fmamk_f32 v180, v211, 0xbf955555, v137
	v_add_f32_e32 v172, v127, v135
	v_sub_f32_e32 v173, v127, v135
	v_sub_f32_e32 v174, v129, v127
	v_add_f32_e32 v127, v128, v161
	v_mul_f32_e32 v175, 0xbf08b237, v175
	v_add_f32_e32 v172, v172, v129
	v_mul_f32_e32 v173, 0xbf08b237, v173
	v_sub_f32_e32 v129, v135, v129
	v_add_f32_e32 v177, v127, v130
	v_fmamk_f32 v127, v165, 0x3d64c772, v163
	v_fmamk_f32 v184, v176, 0x3eae86e6, v175
	;; [unrolled: 1-line block ×3, first 2 shown]
	v_sub_f32_e32 v130, v161, v130
	v_mul_f32_e32 v135, 0x3d64c772, v165
	v_add_f32_e32 v185, v127, v179
	v_fmamk_f32 v127, v167, 0x3d64c772, v166
	v_fmac_f32_e32 v181, 0x3ee1c552, v172
	v_fmac_f32_e32 v184, 0x3ee1c552, v177
	v_fma_f32 v161, 0x3f5ff5aa, v130, -v175
	v_add_f32_e32 v186, v127, v180
	v_add_f32_e32 v127, v184, v185
	v_fmac_f32_e32 v161, 0x3ee1c552, v177
	v_sub_f32_e32 v128, v186, v181
	ds_write2_b64 v233, v[136:137], v[127:128] offset1:45
	v_fma_f32 v136, 0x3f5ff5aa, v129, -v173
	v_mul_f32_e32 v129, 0x3f5ff5aa, v129
	v_sub_f32_e32 v127, v205, v204
	v_sub_f32_e32 v128, v209, v208
	v_fmac_f32_e32 v136, 0x3ee1c552, v172
	v_fma_f32 v137, 0xbeae86e6, v174, -v129
	v_mul_f32_e32 v129, 0x3f5ff5aa, v130
	v_fma_f32 v135, 0x3f3bfb3b, v127, -v135
	v_fma_f32 v127, 0xbf3bfb3b, v127, -v163
	v_fmac_f32_e32 v137, 0x3ee1c552, v172
	v_fma_f32 v163, 0xbeae86e6, v176, -v129
	v_mul_f32_e32 v129, 0x3d64c772, v167
	v_add_f32_e32 v135, v135, v179
	v_add_f32_e32 v165, v127, v179
	v_fmac_f32_e32 v163, 0x3ee1c552, v177
	v_fma_f32 v129, 0x3f3bfb3b, v128, -v129
	v_fma_f32 v128, 0xbf3bfb3b, v128, -v166
	v_add_f32_e32 v127, v163, v165
	v_add_f32_e32 v167, v129, v180
	;; [unrolled: 1-line block ×3, first 2 shown]
	v_sub_f32_e32 v129, v135, v161
	v_add_f32_e32 v130, v136, v167
	v_sub_f32_e32 v128, v166, v137
	ds_write2_b64 v233, v[127:128], v[129:130] offset0:90 offset1:135
	v_add_f32_e32 v127, v161, v135
	v_sub_f32_e32 v128, v167, v136
	v_sub_f32_e32 v129, v165, v163
	v_add_f32_e32 v130, v137, v166
	v_sub_f32_e32 v135, v151, v178
	v_sub_f32_e32 v136, v152, v222
	;; [unrolled: 1-line block ×3, first 2 shown]
	v_fmamk_f32 v161, v223, 0xbf955555, v132
	ds_write2_b64 v233, v[127:128], v[129:130] offset0:180 offset1:225
	v_sub_f32_e32 v127, v185, v184
	v_add_f32_e32 v128, v181, v186
	v_sub_f32_e32 v129, v148, v138
	v_sub_f32_e32 v130, v149, v139
	;; [unrolled: 1-line block ×3, first 2 shown]
	v_mul_f32_e32 v136, 0x3f4a47b2, v136
	ds_write_b64 v233, v[127:128] offset:2160
	v_mul_u32_u24_sdwa v127, v160, v134 dst_sel:DWORD dst_unused:UNUSED_PAD src0_sel:WORD_0 src1_sel:DWORD
	v_sub_f32_e32 v134, v150, v159
	v_sub_f32_e32 v128, v171, v169
	;; [unrolled: 1-line block ×3, first 2 shown]
	v_mul_f32_e32 v138, 0x3f4a47b2, v138
	v_add_lshl_u32 v234, v127, v164, 3
	v_sub_f32_e32 v127, v170, v168
	v_sub_f32_e32 v151, v128, v135
	v_sub_f32_e32 v159, v130, v128
	v_fmamk_f32 v163, v227, 0xbf955555, v133
	v_add_f32_e32 v148, v127, v134
	v_sub_f32_e32 v149, v127, v134
	v_sub_f32_e32 v150, v129, v127
	v_add_f32_e32 v127, v128, v135
	v_mul_f32_e32 v151, 0xbf08b237, v151
	v_add_f32_e32 v148, v148, v129
	v_mul_f32_e32 v149, 0xbf08b237, v149
	v_sub_f32_e32 v129, v134, v129
	v_add_f32_e32 v160, v127, v130
	v_fmamk_f32 v127, v137, 0x3d64c772, v136
	v_fmamk_f32 v165, v159, 0x3eae86e6, v151
	;; [unrolled: 1-line block ×3, first 2 shown]
	v_sub_f32_e32 v130, v135, v130
	v_add_f32_e32 v166, v127, v161
	v_fmamk_f32 v127, v139, 0x3d64c772, v138
	v_fmac_f32_e32 v164, 0x3ee1c552, v148
	v_fmac_f32_e32 v165, 0x3ee1c552, v160
	v_fma_f32 v135, 0x3f5ff5aa, v130, -v151
	v_add_f32_e32 v167, v127, v163
	v_add_f32_e32 v127, v165, v166
	v_fmac_f32_e32 v135, 0x3ee1c552, v160
	v_sub_f32_e32 v128, v167, v164
	ds_write2_b64 v234, v[132:133], v[127:128] offset1:45
	v_fma_f32 v133, 0x3f5ff5aa, v129, -v149
	v_mul_f32_e32 v129, 0x3f5ff5aa, v129
	v_sub_f32_e32 v127, v153, v152
	v_mul_f32_e32 v132, 0x3d64c772, v137
	v_sub_f32_e32 v128, v225, v224
	v_fmac_f32_e32 v133, 0x3ee1c552, v148
	v_fma_f32 v134, 0xbeae86e6, v150, -v129
	v_mul_f32_e32 v129, 0x3f5ff5aa, v130
	v_fma_f32 v132, 0x3f3bfb3b, v127, -v132
	v_fma_f32 v127, 0xbf3bfb3b, v127, -v136
	v_fmac_f32_e32 v134, 0x3ee1c552, v148
	v_fma_f32 v136, 0xbeae86e6, v159, -v129
	v_mul_f32_e32 v129, 0x3d64c772, v139
	v_add_f32_e32 v132, v132, v161
	v_add_f32_e32 v137, v127, v161
	v_fmac_f32_e32 v136, 0x3ee1c552, v160
	v_fma_f32 v129, 0x3f3bfb3b, v128, -v129
	v_fma_f32 v128, 0xbf3bfb3b, v128, -v138
	v_add_f32_e32 v127, v136, v137
	v_add_f32_e32 v139, v129, v163
	v_add_f32_e32 v138, v128, v163
	v_sub_f32_e32 v129, v132, v135
	v_add_f32_e32 v130, v133, v139
	v_sub_f32_e32 v128, v138, v134
	ds_write2_b64 v234, v[127:128], v[129:130] offset0:90 offset1:135
	v_add_f32_e32 v127, v135, v132
	v_sub_f32_e32 v128, v139, v133
	v_sub_f32_e32 v129, v137, v136
	v_add_f32_e32 v130, v134, v138
	v_sub_f32_e32 v132, v146, v142
	v_sub_f32_e32 v133, v230, v131
	;; [unrolled: 1-line block ×4, first 2 shown]
	ds_write2_b64 v234, v[127:128], v[129:130] offset0:180 offset1:225
	v_sub_f32_e32 v127, v166, v165
	v_add_f32_e32 v128, v164, v167
	v_sub_f32_e32 v129, v145, v147
	v_sub_f32_e32 v130, v143, v141
	v_add_f32_e32 v140, v132, v126
	v_sub_f32_e32 v136, v236, v238
	ds_write_b64 v234, v[127:128] offset:2160
	v_sub_f32_e32 v127, v155, v228
	v_sub_f32_e32 v128, v229, v154
	v_add_f32_e32 v138, v130, v129
	v_sub_f32_e32 v137, v238, v237
	v_sub_f32_e32 v139, v130, v129
	;; [unrolled: 1-line block ×4, first 2 shown]
	v_add_f32_e32 v138, v138, v127
	v_sub_f32_e32 v127, v132, v126
	v_sub_f32_e32 v141, v128, v132
	;; [unrolled: 1-line block ×3, first 2 shown]
	v_add_f32_e32 v140, v140, v128
	v_mul_f32_e32 v126, 0x3f4a47b2, v131
	v_mul_f32_e32 v128, 0x3d64c772, v134
	v_sub_f32_e32 v135, v237, v236
	v_mul_f32_e32 v131, 0xbf08b237, v139
	v_fmamk_f32 v143, v235, 0xbf955555, v124
	v_fmamk_f32 v134, v134, 0x3d64c772, v126
	v_fma_f32 v142, 0x3f3bfb3b, v133, -v128
	v_mul_f32_e32 v128, 0x3f4a47b2, v136
	v_fma_f32 v133, 0xbf3bfb3b, v133, -v126
	v_mul_f32_e32 v126, 0x3d64c772, v137
	v_mul_f32_e32 v136, 0x3f5ff5aa, v129
	v_fmamk_f32 v145, v239, 0xbf955555, v125
	v_fmamk_f32 v137, v137, 0x3d64c772, v128
	v_fma_f32 v139, 0x3f3bfb3b, v135, -v126
	v_fma_f32 v135, 0xbf3bfb3b, v135, -v128
	;; [unrolled: 1-line block ×3, first 2 shown]
	v_mul_f32_e32 v129, 0xbf08b237, v127
	v_fmamk_f32 v126, v130, 0x3eae86e6, v131
	v_fma_f32 v127, 0xbeae86e6, v130, -v136
	v_mul_f32_e32 v130, 0x3f5ff5aa, v132
	v_add_f32_e32 v136, v142, v143
	v_fma_f32 v132, 0x3f5ff5aa, v132, -v129
	v_fmamk_f32 v129, v141, 0x3eae86e6, v129
	v_add_f32_e32 v135, v135, v145
	v_fma_f32 v131, 0xbeae86e6, v141, -v130
	v_add_f32_e32 v130, v134, v143
	v_add_f32_e32 v134, v133, v143
	;; [unrolled: 1-line block ×4, first 2 shown]
	v_fmac_f32_e32 v126, 0x3ee1c552, v138
	v_fmac_f32_e32 v132, 0x3ee1c552, v140
	;; [unrolled: 1-line block ×6, first 2 shown]
	v_add_f32_e32 v226, v132, v136
	v_sub_f32_e32 v227, v137, v128
	v_sub_f32_e32 v228, v134, v131
	v_add_f32_e32 v229, v127, v135
	v_sub_f32_e32 v224, v130, v129
	v_add_f32_e32 v225, v126, v133
	s_and_saveexec_b32 s1, s0
	s_cbranch_execz .LBB0_15
; %bb.14:
	v_sub_f32_e32 v136, v136, v132
	v_lshlrev_b32_e32 v132, 3, v144
	v_add_f32_e32 v137, v128, v137
	v_sub_f32_e32 v128, v135, v127
	v_add_f32_e32 v127, v131, v134
	v_sub_f32_e32 v131, v133, v126
	v_add_f32_e32 v130, v129, v130
	v_add_nc_u32_e32 v126, 0x2400, v132
	v_add_nc_u32_e32 v129, 0x2800, v132
	ds_write2_b64 v126, v[124:125], v[130:131] offset0:108 offset1:153
	ds_write2_b64 v129, v[127:128], v[136:137] offset0:70 offset1:115
	;; [unrolled: 1-line block ×3, first 2 shown]
	ds_write_b64 v132, v[224:225] offset:12240
.LBB0_15:
	s_or_b32 exec_lo, exec_lo, s1
	v_lshlrev_b32_e32 v124, 5, v244
	v_lshlrev_b32_e32 v128, 5, v158
	;; [unrolled: 1-line block ×3, first 2 shown]
	s_waitcnt lgkmcnt(0)
	s_barrier
	v_add_co_u32 v126, s1, s2, v124
	v_add_co_ci_u32_e64 v127, null, s3, 0, s1
	buffer_gl0_inv
	v_add_co_u32 v124, s1, 0x800, v126
	v_add_co_ci_u32_e64 v125, s1, 0, v127, s1
	v_add_co_u32 v126, s1, 0x9c0, v126
	v_add_co_ci_u32_e64 v127, s1, 0, v127, s1
	v_add_co_u32 v134, s1, s2, v128
	v_add_co_ci_u32_e64 v135, null, s3, 0, s1
	s_clause 0x1
	global_load_dwordx4 v[128:131], v[124:125], off offset:448
	global_load_dwordx4 v[124:127], v[126:127], off offset:16
	v_add_co_u32 v132, s1, 0x800, v134
	v_add_co_ci_u32_e64 v133, s1, 0, v135, s1
	v_add_co_u32 v134, s1, 0x9c0, v134
	v_add_co_ci_u32_e64 v135, s1, 0, v135, s1
	v_add_co_u32 v136, s1, s2, v136
	v_add_co_ci_u32_e64 v137, null, s3, 0, s1
	s_clause 0x1
	global_load_dwordx4 v[144:147], v[132:133], off offset:448
	global_load_dwordx4 v[140:143], v[134:135], off offset:16
	v_add_co_u32 v132, s1, 0x800, v136
	v_add_co_ci_u32_e64 v133, s1, 0, v137, s1
	v_add_co_u32 v134, s1, 0x9c0, v136
	v_add_co_ci_u32_e64 v135, s1, 0, v137, s1
	s_clause 0x1
	global_load_dwordx4 v[136:139], v[132:133], off offset:448
	global_load_dwordx4 v[132:135], v[134:135], off offset:16
	v_add_nc_u32_e32 v186, 0x400, v255
	v_add_nc_u32_e32 v187, 0x1000, v255
	;; [unrolled: 1-line block ×4, first 2 shown]
	ds_read2_b64 v[164:167], v186 offset0:124 offset1:187
	ds_read2_b64 v[152:155], v187 offset0:118 offset1:181
	;; [unrolled: 1-line block ×3, first 2 shown]
	v_add_nc_u32_e32 v188, 0x1c00, v255
	v_add_nc_u32_e32 v185, 0x1800, v255
	ds_read2_b64 v[172:175], v184 offset0:122 offset1:185
	ds_read2_b64 v[176:179], v188 offset0:112 offset1:175
	ds_read2_b64 v[148:151], v255 offset1:63
	ds_read2_b64 v[168:171], v185 offset0:114 offset1:177
	v_add_nc_u32_e32 v235, 0x2800, v255
	s_waitcnt vmcnt(5) lgkmcnt(5)
	v_mul_f32_e32 v181, v153, v131
	v_mul_f32_e32 v157, v152, v131
	s_waitcnt vmcnt(4) lgkmcnt(0)
	v_mul_f32_e32 v201, v170, v125
	v_mul_f32_e32 v180, v167, v129
	;; [unrolled: 1-line block ×4, first 2 shown]
	v_fma_f32 v199, v152, v130, -v181
	v_fmac_f32_e32 v157, v153, v130
	v_mul_f32_e32 v206, v166, v129
	v_fmac_f32_e32 v201, v171, v124
	v_fma_f32 v200, v158, v126, -v190
	v_fmac_f32_e32 v163, v159, v126
	v_fma_f32 v223, v166, v128, -v180
	s_waitcnt vmcnt(3)
	v_mul_f32_e32 v191, v155, v147
	v_mul_f32_e32 v193, v154, v147
	;; [unrolled: 1-line block ×3, first 2 shown]
	s_waitcnt vmcnt(2)
	v_mul_f32_e32 v203, v177, v141
	v_fmac_f32_e32 v206, v167, v128
	v_fma_f32 v197, v154, v146, -v191
	v_mul_f32_e32 v154, v171, v125
	v_fma_f32 v204, v172, v144, -v202
	v_fma_f32 v205, v176, v140, -v203
	v_fmac_f32_e32 v193, v155, v146
	v_sub_f32_e32 v207, v206, v163
	s_waitcnt vmcnt(1)
	v_mul_f32_e32 v152, v175, v137
	s_waitcnt vmcnt(0)
	v_mul_f32_e32 v153, v179, v133
	v_fma_f32 v230, v170, v124, -v154
	v_sub_f32_e32 v154, v223, v199
	v_sub_f32_e32 v210, v223, v200
	v_fma_f32 v202, v174, v136, -v152
	v_fma_f32 v203, v178, v132, -v153
	v_add_f32_e32 v152, v199, v230
	v_add_f32_e32 v153, v157, v201
	v_sub_f32_e32 v155, v200, v230
	v_sub_f32_e32 v158, v206, v157
	;; [unrolled: 1-line block ×3, first 2 shown]
	v_fma_f32 v152, -0.5, v152, v148
	v_fma_f32 v153, -0.5, v153, v149
	v_add_f32_e32 v208, v154, v155
	v_sub_f32_e32 v211, v157, v201
	v_sub_f32_e32 v222, v199, v230
	v_fmamk_f32 v154, v207, 0x3f737871, v152
	v_fmamk_f32 v155, v210, 0xbf737871, v153
	v_mul_f32_e32 v192, v161, v143
	v_add_f32_e32 v209, v158, v159
	v_mul_f32_e32 v194, v172, v145
	v_fmac_f32_e32 v154, 0x3f167918, v211
	v_fmac_f32_e32 v155, 0xbf167918, v222
	v_mul_f32_e32 v195, v160, v143
	v_mul_f32_e32 v196, v176, v141
	;; [unrolled: 1-line block ×3, first 2 shown]
	v_fma_f32 v198, v160, v142, -v192
	v_mul_f32_e32 v192, v178, v133
	v_fmac_f32_e32 v154, 0x3e9e377a, v208
	v_fmac_f32_e32 v155, 0x3e9e377a, v209
	v_add_nc_u32_e32 v190, 0x1400, v255
	v_add_nc_u32_e32 v167, 0xc00, v255
	;; [unrolled: 1-line block ×3, first 2 shown]
	v_fmac_f32_e32 v195, v161, v142
	v_fmac_f32_e32 v194, v173, v144
	;; [unrolled: 1-line block ×5, first 2 shown]
	ds_read2_b64 v[178:181], v190 offset0:116 offset1:179
	ds_read2_b64 v[158:161], v235 offset0:106 offset1:169
	;; [unrolled: 1-line block ×4, first 2 shown]
	ds_write_b64 v255, v[154:155] offset:2520
	v_add_f32_e32 v154, v148, v223
	v_add_f32_e32 v155, v149, v206
	ds_read2_b64 v[236:239], v255 offset0:126 offset1:189
	v_fmac_f32_e32 v152, 0xbf737871, v207
	v_fmac_f32_e32 v153, 0x3f737871, v210
	v_add_f32_e32 v154, v154, v199
	v_add_f32_e32 v155, v155, v157
	v_sub_f32_e32 v199, v199, v223
	v_add_f32_e32 v223, v223, v200
	v_sub_f32_e32 v157, v157, v206
	v_add_f32_e32 v154, v154, v230
	v_sub_f32_e32 v230, v230, v200
	v_add_f32_e32 v155, v155, v201
	v_fma_f32 v148, -0.5, v223, v148
	v_fmac_f32_e32 v152, 0xbf167918, v211
	v_add_f32_e32 v154, v154, v200
	v_add_f32_e32 v200, v206, v163
	;; [unrolled: 1-line block ×3, first 2 shown]
	v_sub_f32_e32 v163, v201, v163
	v_add_f32_e32 v201, v199, v230
	v_fmamk_f32 v199, v211, 0xbf737871, v148
	v_fma_f32 v149, -0.5, v200, v149
	v_fmac_f32_e32 v148, 0x3f737871, v211
	v_add_f32_e32 v157, v157, v163
	v_fmac_f32_e32 v153, 0x3f167918, v222
	v_fmac_f32_e32 v199, 0x3f167918, v207
	v_fmamk_f32 v200, v222, 0x3f737871, v149
	v_fmac_f32_e32 v149, 0xbf737871, v222
	v_fmac_f32_e32 v148, 0xbf167918, v207
	;; [unrolled: 1-line block ×8, first 2 shown]
	s_waitcnt lgkmcnt(4)
	v_mul_f32_e32 v230, v158, v135
	v_fmac_f32_e32 v200, 0x3e9e377a, v157
	v_fmac_f32_e32 v149, 0x3e9e377a, v157
	v_mul_f32_e32 v231, v178, v139
	ds_write_b64 v255, v[152:153] offset:10080
	v_fmac_f32_e32 v230, v159, v134
	ds_write_b64 v255, v[199:200] offset:5040
	ds_write_b64 v255, v[148:149] offset:7560
	v_add_f32_e32 v148, v150, v204
	v_add_f32_e32 v149, v151, v194
	ds_read_b64 v[199:200], v255 offset:12096
	v_fmac_f32_e32 v231, v179, v138
	v_sub_f32_e32 v241, v193, v196
	v_add_f32_e32 v148, v148, v197
	v_add_f32_e32 v149, v149, v193
	v_sub_f32_e32 v242, v197, v205
	v_sub_f32_e32 v243, v231, v192
	;; [unrolled: 1-line block ×3, first 2 shown]
	v_add_f32_e32 v148, v148, v205
	v_add_f32_e32 v149, v149, v196
	v_sub_f32_e32 v153, v192, v230
	v_sub_f32_e32 v246, v194, v195
	;; [unrolled: 1-line block ×3, first 2 shown]
	v_add_f32_e32 v148, v148, v198
	v_add_f32_e32 v149, v149, v195
	v_sub_f32_e32 v248, v191, v230
	v_add_f32_e32 v240, v152, v153
	ds_write2_b64 v255, v[154:155], v[148:149] offset1:63
	v_add_f32_e32 v148, v197, v205
	v_add_f32_e32 v149, v204, v198
	v_fma_f32 v206, -0.5, v148, v150
	v_fma_f32 v150, -0.5, v149, v150
	v_sub_f32_e32 v148, v197, v204
	v_sub_f32_e32 v149, v205, v198
	v_add_f32_e32 v201, v148, v149
	v_add_f32_e32 v148, v193, v196
	v_sub_f32_e32 v149, v196, v195
	v_fma_f32 v207, -0.5, v148, v151
	v_add_f32_e32 v148, v194, v195
	v_fmac_f32_e32 v151, -0.5, v148
	v_sub_f32_e32 v148, v193, v194
	v_add_f32_e32 v210, v148, v149
	v_mul_f32_e32 v148, v179, v139
	v_fmamk_f32 v179, v242, 0x3f737871, v151
	v_fmac_f32_e32 v151, 0xbf737871, v242
	v_fma_f32 v211, v178, v138, -v148
	v_mul_f32_e32 v148, v159, v135
	v_fmamk_f32 v178, v241, 0xbf737871, v150
	v_fmac_f32_e32 v150, 0x3f737871, v241
	v_fmac_f32_e32 v151, 0x3f167918, v247
	v_sub_f32_e32 v245, v211, v203
	v_fma_f32 v222, v158, v134, -v148
	v_sub_f32_e32 v148, v211, v202
	v_fmac_f32_e32 v150, 0xbf167918, v246
	v_fmac_f32_e32 v151, 0x3e9e377a, v210
	;; [unrolled: 1-line block ×3, first 2 shown]
	v_sub_f32_e32 v149, v203, v222
	v_sub_f32_e32 v249, v202, v222
	v_fmac_f32_e32 v150, 0x3e9e377a, v201
	v_fmac_f32_e32 v179, 0xbf167918, v247
	;; [unrolled: 1-line block ×3, first 2 shown]
	v_add_f32_e32 v223, v148, v149
	v_add_f32_e32 v148, v202, v222
	;; [unrolled: 1-line block ×3, first 2 shown]
	v_fmac_f32_e32 v179, 0x3e9e377a, v210
	s_waitcnt lgkmcnt(5)
	v_fma_f32 v148, -0.5, v148, v236
	v_fma_f32 v149, -0.5, v149, v237
	v_fmamk_f32 v208, v243, 0xbf737871, v148
	v_fmac_f32_e32 v148, 0x3f737871, v243
	v_fmamk_f32 v209, v245, 0x3f737871, v149
	v_fmac_f32_e32 v149, 0xbf737871, v245
	v_fmac_f32_e32 v208, 0x3f167918, v248
	;; [unrolled: 1-line block ×9, first 2 shown]
	ds_write2_b64 v188, v[150:151], v[148:149] offset0:112 offset1:175
	v_lshlrev_b32_e32 v148, 5, v156
	v_add_co_u32 v150, s1, s2, v148
	v_add_co_ci_u32_e64 v151, null, s3, 0, s1
	v_add_co_u32 v148, s1, 0x800, v150
	v_add_co_ci_u32_e64 v149, s1, 0, v151, s1
	v_add_co_u32 v150, s1, 0x9c0, v150
	v_add_co_ci_u32_e64 v151, s1, 0, v151, s1
	s_clause 0x1
	global_load_dwordx4 v[156:159], v[148:149], off offset:448
	global_load_dwordx4 v[152:155], v[150:151], off offset:16
	s_waitcnt vmcnt(1)
	v_mul_f32_e32 v148, v181, v159
	s_waitcnt vmcnt(0)
	v_mul_f32_e32 v251, v160, v155
	v_mul_f32_e32 v214, v170, v153
	v_fma_f32 v250, v180, v158, -v148
	v_mul_f32_e32 v180, v180, v159
	v_mul_f32_e32 v148, v161, v155
	v_fmac_f32_e32 v251, v161, v154
	v_fmac_f32_e32 v214, v171, v152
	;; [unrolled: 1-line block ×3, first 2 shown]
	v_fma_f32 v181, v160, v154, -v148
	v_lshlrev_b32_e32 v148, 5, v162
	v_mul_f32_e32 v160, v175, v157
	v_add_co_u32 v150, s1, s2, v148
	v_add_co_ci_u32_e64 v151, null, s3, 0, s1
	v_fma_f32 v252, v174, v156, -v160
	v_add_co_u32 v148, s1, 0x800, v150
	v_add_co_ci_u32_e64 v149, s1, 0, v151, s1
	v_add_co_u32 v150, s1, 0x9c0, v150
	v_add_co_ci_u32_e64 v151, s1, 0, v151, s1
	s_clause 0x1
	global_load_dwordx4 v[160:163], v[148:149], off offset:448
	global_load_dwordx4 v[148:151], v[150:151], off offset:16
	v_mul_f32_e32 v174, v174, v157
	ds_write2_b64 v187, v[178:179], v[208:209] offset0:181 offset1:244
	v_sub_f32_e32 v179, v180, v214
	v_fmac_f32_e32 v174, v175, v156
	s_waitcnt vmcnt(1)
	v_mul_f32_e32 v175, v177, v161
	v_mul_f32_e32 v254, v168, v163
	s_waitcnt vmcnt(0)
	v_mul_f32_e32 v212, v172, v149
	v_fma_f32 v253, v176, v160, -v175
	v_mul_f32_e32 v176, v176, v161
	v_mul_f32_e32 v175, v169, v163
	v_fmac_f32_e32 v254, v169, v162
	v_sub_f32_e32 v169, v198, v205
	v_fmac_f32_e32 v212, v173, v148
	v_fmac_f32_e32 v176, v177, v160
	v_fma_f32 v177, v168, v162, -v175
	v_mul_f32_e32 v168, v171, v153
	v_sub_f32_e32 v171, v195, v196
	v_fma_f32 v175, v170, v152, -v168
	v_mul_f32_e32 v168, v173, v149
	v_sub_f32_e32 v170, v194, v193
	v_fma_f32 v215, v172, v148, -v168
	v_sub_f32_e32 v168, v204, v197
	v_add_f32_e32 v194, v170, v171
	v_sub_f32_e32 v170, v191, v231
	v_sub_f32_e32 v171, v230, v192
	v_add_f32_e32 v193, v168, v169
	v_sub_f32_e32 v168, v202, v211
	v_sub_f32_e32 v169, v222, v203
	v_add_f32_e32 v196, v170, v171
	v_fmamk_f32 v170, v246, 0x3f737871, v206
	v_fmamk_f32 v171, v247, 0xbf737871, v207
	v_fmac_f32_e32 v206, 0xbf737871, v246
	v_add_f32_e32 v195, v168, v169
	v_add_f32_e32 v168, v211, v203
	;; [unrolled: 1-line block ×3, first 2 shown]
	v_fmac_f32_e32 v207, 0x3f737871, v247
	v_fmac_f32_e32 v170, 0x3f167918, v241
	;; [unrolled: 1-line block ×3, first 2 shown]
	v_fma_f32 v168, -0.5, v168, v236
	v_fma_f32 v169, -0.5, v169, v237
	v_fmac_f32_e32 v206, 0xbf167918, v241
	v_fmac_f32_e32 v207, 0x3f167918, v242
	;; [unrolled: 1-line block ×3, first 2 shown]
	v_fmamk_f32 v172, v248, 0x3f737871, v168
	v_fmamk_f32 v173, v249, 0xbf737871, v169
	v_fmac_f32_e32 v168, 0xbf737871, v248
	v_fmac_f32_e32 v169, 0x3f737871, v249
	;; [unrolled: 1-line block ×13, first 2 shown]
	v_sub_f32_e32 v195, v252, v250
	ds_write2_b64 v184, v[170:171], v[172:173] offset0:122 offset1:185
	v_add_f32_e32 v170, v238, v252
	v_add_f32_e32 v171, v239, v174
	ds_write2_b64 v235, v[206:207], v[168:169] offset0:43 offset1:106
	v_add_f32_e32 v168, v236, v202
	v_add_f32_e32 v169, v237, v191
	v_add_f32_e32 v170, v170, v250
	v_add_f32_e32 v171, v171, v180
	v_sub_f32_e32 v173, v174, v251
	v_add_f32_e32 v168, v168, v211
	v_add_f32_e32 v169, v169, v231
	v_add_f32_e32 v170, v170, v175
	v_add_f32_e32 v171, v171, v214
	v_sub_f32_e32 v191, v250, v175
	;; [unrolled: 5-line block ×3, first 2 shown]
	v_add_f32_e32 v168, v168, v222
	v_add_f32_e32 v169, v169, v230
	s_waitcnt lgkmcnt(5)
	v_mul_f32_e32 v193, v200, v151
	v_mul_f32_e32 v194, v199, v151
	v_add_co_u32 v222, s1, 0x3000, v182
	ds_write2_b64 v255, v[168:169], v[170:171] offset0:126 offset1:189
	v_add_f32_e32 v168, v250, v175
	v_add_f32_e32 v169, v252, v181
	v_sub_f32_e32 v170, v175, v181
	v_sub_f32_e32 v171, v214, v251
	;; [unrolled: 1-line block ×3, first 2 shown]
	v_fma_f32 v168, -0.5, v168, v238
	v_fma_f32 v238, -0.5, v169, v238
	v_sub_f32_e32 v169, v250, v252
	v_fma_f32 v193, v199, v150, -v193
	v_add_f32_e32 v175, v195, v175
	v_fmac_f32_e32 v194, v200, v150
	v_add_co_ci_u32_e64 v223, s1, 0, v183, s1
	v_add_f32_e32 v172, v169, v170
	v_add_f32_e32 v169, v180, v214
	;; [unrolled: 1-line block ×3, first 2 shown]
	v_fma_f32 v169, -0.5, v169, v239
	v_fmac_f32_e32 v239, -0.5, v170
	v_sub_f32_e32 v170, v180, v174
	v_sub_f32_e32 v174, v174, v180
	;; [unrolled: 1-line block ×3, first 2 shown]
	v_add_f32_e32 v178, v170, v171
	v_fmamk_f32 v170, v179, 0xbf737871, v238
	v_fmac_f32_e32 v238, 0x3f737871, v179
	v_fmamk_f32 v171, v191, 0x3f737871, v239
	v_fmac_f32_e32 v239, 0xbf737871, v191
	v_add_f32_e32 v174, v174, v180
	v_fmac_f32_e32 v170, 0x3f167918, v173
	v_fmac_f32_e32 v238, 0xbf167918, v173
	;; [unrolled: 1-line block ×4, first 2 shown]
	v_sub_f32_e32 v180, v212, v194
	v_fmac_f32_e32 v170, 0x3e9e377a, v172
	v_fmac_f32_e32 v238, 0x3e9e377a, v172
	v_fmamk_f32 v172, v173, 0x3f737871, v168
	v_fmac_f32_e32 v168, 0xbf737871, v173
	v_fmamk_f32 v173, v192, 0xbf737871, v169
	v_fmac_f32_e32 v169, 0x3f737871, v192
	v_fmac_f32_e32 v239, 0x3e9e377a, v178
	v_fmac_f32_e32 v171, 0x3e9e377a, v178
	v_fmac_f32_e32 v168, 0xbf167918, v179
	v_fmac_f32_e32 v172, 0x3f167918, v179
	v_fmac_f32_e32 v169, 0x3f167918, v191
	ds_write_b64 v255, v[238:239] offset:9072
	v_fmac_f32_e32 v173, 0xbf167918, v191
	v_fmac_f32_e32 v168, 0x3e9e377a, v175
	;; [unrolled: 1-line block ×4, first 2 shown]
	ds_write_b64 v255, v[170:171] offset:6552
	ds_write_b64 v255, v[168:169] offset:11592
	v_add_f32_e32 v168, v177, v215
	v_add_f32_e32 v171, v253, v193
	v_sub_f32_e32 v175, v176, v194
	v_sub_f32_e32 v169, v253, v177
	;; [unrolled: 1-line block ×3, first 2 shown]
	v_fma_f32 v230, -0.5, v168, v164
	v_fmac_f32_e32 v173, 0x3e9e377a, v174
	v_add_f32_e32 v174, v164, v253
	v_fma_f32 v164, -0.5, v171, v164
	v_sub_f32_e32 v171, v254, v212
	v_fmamk_f32 v168, v175, 0x3f737871, v230
	v_fmac_f32_e32 v230, 0xbf737871, v175
	v_add_f32_e32 v169, v169, v170
	v_sub_f32_e32 v179, v253, v193
	v_fmamk_f32 v170, v171, 0xbf737871, v164
	v_fmac_f32_e32 v168, 0x3f167918, v171
	v_fmac_f32_e32 v230, 0xbf167918, v171
	v_fmac_f32_e32 v164, 0x3f737871, v171
	v_sub_f32_e32 v171, v215, v193
	v_fmac_f32_e32 v170, 0x3f167918, v175
	v_fmac_f32_e32 v168, 0x3e9e377a, v169
	;; [unrolled: 1-line block ×3, first 2 shown]
	v_sub_f32_e32 v169, v177, v253
	v_fmac_f32_e32 v164, 0xbf167918, v175
	v_add_f32_e32 v178, v169, v171
	v_add_f32_e32 v169, v174, v177
	;; [unrolled: 1-line block ×3, first 2 shown]
	v_sub_f32_e32 v177, v177, v215
	v_fmac_f32_e32 v170, 0x3e9e377a, v178
	v_add_f32_e32 v169, v169, v215
	v_add_f32_e32 v171, v171, v254
	v_fmac_f32_e32 v164, 0x3e9e377a, v178
	v_add_f32_e32 v174, v169, v193
	v_add_f32_e32 v169, v254, v212
	;; [unrolled: 1-line block ×3, first 2 shown]
	v_fma_f32 v231, -0.5, v169, v165
	v_add_f32_e32 v169, v176, v194
	v_add_f32_e32 v175, v171, v194
	v_sub_f32_e32 v171, v194, v212
	v_fmac_f32_e32 v165, -0.5, v169
	v_sub_f32_e32 v169, v176, v254
	v_sub_f32_e32 v176, v254, v176
	v_add_f32_e32 v181, v169, v171
	v_fmamk_f32 v169, v179, 0xbf737871, v231
	v_fmamk_f32 v171, v177, 0x3f737871, v165
	v_fmac_f32_e32 v231, 0x3f737871, v179
	v_fmac_f32_e32 v165, 0xbf737871, v177
	v_add_f32_e32 v176, v176, v180
	v_fmac_f32_e32 v169, 0xbf167918, v177
	v_fmac_f32_e32 v171, 0xbf167918, v179
	v_fmac_f32_e32 v231, 0x3f167918, v177
	v_fmac_f32_e32 v165, 0x3f167918, v179
	v_fmac_f32_e32 v169, 0x3e9e377a, v181
	v_fmac_f32_e32 v171, 0x3e9e377a, v176
	v_fmac_f32_e32 v231, 0x3e9e377a, v181
	v_fmac_f32_e32 v165, 0x3e9e377a, v176
	ds_write_b64 v255, v[174:175] offset:2016
	ds_write2_b64 v167, v[172:173], v[168:169] offset0:120 offset1:183
	ds_write_b64 v255, v[170:171] offset:7056
	ds_write_b64 v255, v[164:165] offset:9576
	v_add_co_u32 v164, s1, 0x3138, v182
	ds_write_b64 v255, v[230:231] offset:12096
	s_waitcnt lgkmcnt(0)
	s_barrier
	buffer_gl0_inv
	global_load_dwordx2 v[172:173], v[222:223], off offset:312
	v_add_co_ci_u32_e64 v165, s1, 0, v183, s1
	ds_read2_b64 v[168:171], v255 offset1:63
	v_add_co_u32 v176, s1, 0x3800, v182
	global_load_dwordx2 v[174:175], v[164:165], off offset:504
	v_add_co_ci_u32_e64 v177, s1, 0, v183, s1
	global_load_dwordx2 v[178:179], v[176:177], off offset:1792
	s_waitcnt vmcnt(2) lgkmcnt(0)
	v_mul_f32_e32 v180, v169, v173
	v_mul_f32_e32 v181, v168, v173
	v_fma_f32 v180, v168, v172, -v180
	s_waitcnt vmcnt(1)
	v_mul_f32_e32 v168, v171, v175
	v_fmac_f32_e32 v181, v169, v172
	v_mul_f32_e32 v196, v170, v175
	s_clause 0x2
	global_load_dwordx2 v[172:173], v[164:165], off offset:1008
	global_load_dwordx2 v[191:192], v[164:165], off offset:1512
	;; [unrolled: 1-line block ×3, first 2 shown]
	v_fma_f32 v195, v170, v174, -v168
	v_add_co_u32 v168, s1, 0x4000, v182
	v_add_co_ci_u32_e64 v169, s1, 0, v183, s1
	ds_write_b64 v255, v[180:181]
	v_fmac_f32_e32 v196, v171, v174
	s_clause 0x3
	global_load_dwordx2 v[174:175], v[168:169], off offset:416
	global_load_dwordx2 v[180:181], v[168:169], off offset:920
	;; [unrolled: 1-line block ×4, first 2 shown]
	ds_read2_b64 v[168:171], v187 offset0:13 offset1:76
	s_waitcnt vmcnt(3) lgkmcnt(0)
	v_mul_f32_e32 v201, v169, v175
	v_mul_f32_e32 v202, v168, v175
	s_waitcnt vmcnt(2)
	v_mul_f32_e32 v175, v170, v181
	v_fma_f32 v201, v168, v174, -v201
	v_mul_f32_e32 v168, v171, v181
	v_fmac_f32_e32 v202, v169, v174
	v_fmac_f32_e32 v175, v171, v180
	v_fma_f32 v174, v170, v180, -v168
	v_add_co_u32 v168, s1, 0x5000, v182
	v_add_co_ci_u32_e64 v169, s1, 0, v183, s1
	s_clause 0x3
	global_load_dwordx2 v[180:181], v[168:169], off offset:520
	global_load_dwordx2 v[203:204], v[168:169], off offset:1024
	;; [unrolled: 1-line block ×4, first 2 shown]
	ds_read2_b64 v[168:171], v166 offset0:26 offset1:89
	s_waitcnt vmcnt(3) lgkmcnt(0)
	v_mul_f32_e32 v209, v169, v181
	v_mul_f32_e32 v210, v168, v181
	s_waitcnt vmcnt(2)
	v_mul_f32_e32 v181, v170, v204
	v_fma_f32 v209, v168, v180, -v209
	v_mul_f32_e32 v168, v171, v204
	v_fmac_f32_e32 v210, v169, v180
	v_fmac_f32_e32 v181, v171, v203
	v_fma_f32 v180, v170, v203, -v168
	ds_read2_b64 v[168:171], v255 offset0:126 offset1:189
	s_waitcnt lgkmcnt(0)
	v_mul_f32_e32 v203, v169, v173
	v_mul_f32_e32 v204, v168, v173
	;; [unrolled: 1-line block ×3, first 2 shown]
	v_fma_f32 v203, v168, v172, -v203
	v_mul_f32_e32 v168, v171, v192
	v_fmac_f32_e32 v204, v169, v172
	v_fmac_f32_e32 v173, v171, v191
	v_fma_f32 v172, v170, v191, -v168
	ds_read2_b64 v[168:171], v187 offset0:139 offset1:202
	s_waitcnt lgkmcnt(0)
	v_mul_f32_e32 v191, v169, v198
	v_mul_f32_e32 v192, v168, v198
	;; [unrolled: 1-line block ×3, first 2 shown]
	v_fma_f32 v191, v168, v197, -v191
	v_mul_f32_e32 v168, v171, v200
	v_fmac_f32_e32 v192, v169, v197
	v_fmac_f32_e32 v198, v171, v199
	v_fma_f32 v197, v170, v199, -v168
	ds_read2_b64 v[168:171], v166 offset0:152 offset1:215
	s_waitcnt vmcnt(1) lgkmcnt(0)
	v_mul_f32_e32 v199, v169, v206
	v_mul_f32_e32 v200, v168, v206
	s_waitcnt vmcnt(0)
	v_mul_f32_e32 v206, v170, v208
	v_fma_f32 v199, v168, v205, -v199
	v_mul_f32_e32 v168, v171, v208
	v_fmac_f32_e32 v200, v169, v205
	v_fmac_f32_e32 v206, v171, v207
	v_fma_f32 v205, v170, v207, -v168
	ds_read2_b64 v[168:171], v186 offset0:124 offset1:187
	s_waitcnt lgkmcnt(0)
	v_mul_f32_e32 v207, v169, v194
	v_mul_f32_e32 v208, v168, v194
	v_fma_f32 v207, v168, v193, -v207
	v_fmac_f32_e32 v208, v169, v193
	s_clause 0x1
	global_load_dwordx2 v[168:169], v[176:177], off offset:784
	global_load_dwordx2 v[176:177], v[176:177], off offset:1288
	s_waitcnt vmcnt(1)
	v_mul_f32_e32 v193, v171, v169
	v_mul_f32_e32 v194, v170, v169
	v_fma_f32 v193, v170, v168, -v193
	v_fmac_f32_e32 v194, v171, v168
	v_add_co_u32 v168, s1, 0x4800, v182
	v_add_co_ci_u32_e64 v169, s1, 0, v183, s1
	s_clause 0x3
	global_load_dwordx2 v[236:237], v[168:169], off offset:384
	global_load_dwordx2 v[238:239], v[168:169], off offset:888
	;; [unrolled: 1-line block ×4, first 2 shown]
	ds_read2_b64 v[168:171], v185 offset0:9 offset1:72
	s_waitcnt vmcnt(3) lgkmcnt(0)
	v_mul_f32_e32 v211, v169, v237
	v_mul_f32_e32 v246, v168, v237
	s_waitcnt vmcnt(2)
	v_mul_f32_e32 v237, v170, v239
	v_fma_f32 v245, v168, v236, -v211
	v_mul_f32_e32 v168, v171, v239
	v_fmac_f32_e32 v246, v169, v236
	v_fmac_f32_e32 v237, v171, v238
	v_fma_f32 v236, v170, v238, -v168
	v_add_co_u32 v168, s1, 0x5800, v182
	v_add_co_ci_u32_e64 v169, s1, 0, v183, s1
	s_clause 0x3
	global_load_dwordx2 v[182:183], v[168:169], off offset:488
	global_load_dwordx2 v[238:239], v[168:169], off offset:992
	;; [unrolled: 1-line block ×4, first 2 shown]
	ds_read2_b64 v[168:171], v235 offset0:22 offset1:85
	s_waitcnt vmcnt(3) lgkmcnt(0)
	v_mul_f32_e32 v211, v169, v183
	v_mul_f32_e32 v252, v168, v183
	s_waitcnt vmcnt(2)
	v_mul_f32_e32 v183, v170, v239
	v_fma_f32 v251, v168, v182, -v211
	v_mul_f32_e32 v168, v171, v239
	v_fmac_f32_e32 v252, v169, v182
	v_fmac_f32_e32 v183, v171, v238
	v_fma_f32 v182, v170, v238, -v168
	ds_read2_b64 v[168:171], v184 offset0:122 offset1:185
	s_waitcnt lgkmcnt(0)
	v_mul_f32_e32 v211, v169, v177
	v_mul_f32_e32 v239, v168, v177
	;; [unrolled: 1-line block ×3, first 2 shown]
	v_fma_f32 v238, v168, v176, -v211
	v_mul_f32_e32 v168, v171, v179
	v_fmac_f32_e32 v239, v169, v176
	v_fmac_f32_e32 v177, v171, v178
	v_fma_f32 v176, v170, v178, -v168
	ds_read2_b64 v[168:171], v185 offset0:135 offset1:198
	s_waitcnt lgkmcnt(0)
	v_mul_f32_e32 v178, v169, v241
	v_mul_f32_e32 v179, v168, v241
	;; [unrolled: 1-line block ×3, first 2 shown]
	v_fma_f32 v178, v168, v240, -v178
	v_mul_f32_e32 v168, v171, v243
	v_fmac_f32_e32 v179, v169, v240
	v_fmac_f32_e32 v241, v171, v242
	v_fma_f32 v240, v170, v242, -v168
	ds_read2_b64 v[168:171], v235 offset0:148 offset1:211
	s_waitcnt vmcnt(1) lgkmcnt(0)
	v_mul_f32_e32 v211, v169, v248
	v_mul_f32_e32 v243, v168, v248
	v_fma_f32 v242, v168, v247, -v211
	v_fmac_f32_e32 v243, v169, v247
	s_waitcnt vmcnt(0)
	v_mul_f32_e32 v168, v171, v250
	v_mul_f32_e32 v169, v170, v250
	v_fma_f32 v168, v170, v249, -v168
	v_fmac_f32_e32 v169, v171, v249
	ds_write2_b64 v190, v[197:198], v[245:246] offset0:74 offset1:137
	ds_write2_b64 v189, v[205:206], v[251:252] offset0:87 offset1:150
	ds_write2_b64 v255, v[195:196], v[203:204] offset0:63 offset1:126
	ds_write2_b64 v187, v[174:175], v[191:192] offset0:76 offset1:139
	ds_write2_b64 v166, v[180:181], v[199:200] offset0:89 offset1:152
	ds_write2_b64 v255, v[172:173], v[207:208] offset0:189 offset1:252
	ds_write2_b64 v184, v[193:194], v[238:239] offset0:59 offset1:122
	ds_write2_b64 v185, v[236:237], v[178:179] offset0:72 offset1:135
	ds_write2_b64 v235, v[182:183], v[242:243] offset0:85 offset1:148
	ds_write2_b64 v167, v[176:177], v[201:202] offset0:57 offset1:141
	ds_write2_b64 v188, v[240:241], v[209:210] offset0:70 offset1:154
	ds_write_b64 v255, v[168:169] offset:11928
	s_and_saveexec_b32 s2, vcc_lo
	s_cbranch_execz .LBB0_17
; %bb.16:
	v_add_co_u32 v167, s1, 0x800, v164
	v_add_co_ci_u32_e64 v168, s1, 0, v165, s1
	v_add_co_u32 v169, s1, 0x2000, v164
	v_add_co_ci_u32_e64 v170, s1, 0, v165, s1
	;; [unrolled: 2-line block ×3, first 2 shown]
	s_clause 0x2
	global_load_dwordx2 v[167:168], v[167:168], off offset:1984
	global_load_dwordx2 v[169:170], v[169:170], off offset:40
	;; [unrolled: 1-line block ×3, first 2 shown]
	ds_read_b64 v[171:172], v255 offset:4032
	ds_read_b64 v[173:174], v255 offset:8232
	;; [unrolled: 1-line block ×3, first 2 shown]
	s_waitcnt vmcnt(2) lgkmcnt(2)
	v_mul_f32_e32 v177, v172, v168
	v_mul_f32_e32 v178, v171, v168
	s_waitcnt vmcnt(1) lgkmcnt(1)
	v_mul_f32_e32 v179, v174, v170
	v_mul_f32_e32 v168, v173, v170
	;; [unrolled: 3-line block ×3, first 2 shown]
	v_fma_f32 v177, v171, v167, -v177
	v_fmac_f32_e32 v178, v172, v167
	v_fma_f32 v167, v173, v169, -v179
	v_fmac_f32_e32 v168, v174, v169
	;; [unrolled: 2-line block ×3, first 2 shown]
	ds_write_b64 v255, v[177:178] offset:4032
	ds_write_b64 v255, v[167:168] offset:8232
	;; [unrolled: 1-line block ×3, first 2 shown]
.LBB0_17:
	s_or_b32 exec_lo, exec_lo, s2
	s_waitcnt lgkmcnt(0)
	s_barrier
	buffer_gl0_inv
	ds_read2_b64 v[176:179], v255 offset1:63
	ds_read2_b64 v[208:211], v187 offset0:13 offset1:76
	ds_read2_b64 v[204:207], v166 offset0:26 offset1:89
	;; [unrolled: 1-line block ×11, first 2 shown]
	s_and_saveexec_b32 s1, vcc_lo
	s_cbranch_execz .LBB0_19
; %bb.18:
	ds_read_b64 v[230:231], v255 offset:4032
	ds_read_b64 v[226:227], v255 offset:8232
	;; [unrolled: 1-line block ×3, first 2 shown]
.LBB0_19:
	s_or_b32 exec_lo, exec_lo, s1
	s_waitcnt lgkmcnt(9)
	v_add_f32_e32 v212, v208, v204
	v_add_f32_e32 v213, v176, v208
	s_waitcnt lgkmcnt(0)
	s_barrier
	buffer_gl0_inv
	v_fma_f32 v176, -0.5, v212, v176
	buffer_load_dword v212, off, s[16:19], 0 offset:228 ; 4-byte Folded Reload
	v_add_f32_e32 v236, v178, v210
	v_sub_f32_e32 v208, v208, v204
	v_add_f32_e32 v235, v210, v206
	v_sub_f32_e32 v210, v210, v206
	v_add_f32_e32 v204, v213, v204
	v_add_f32_e32 v206, v236, v206
	;; [unrolled: 1-line block ×3, first 2 shown]
	v_sub_f32_e32 v236, v201, v197
	v_add_f32_e32 v201, v173, v201
	v_add_f32_e32 v241, v203, v199
	v_sub_f32_e32 v242, v203, v199
	v_add_f32_e32 v203, v175, v203
	v_add_f32_e32 v215, v209, v205
	;; [unrolled: 1-line block ×4, first 2 shown]
	v_sub_f32_e32 v243, v192, v188
	v_add_f32_e32 v199, v203, v199
	v_add_f32_e32 v203, v168, v192
	;; [unrolled: 1-line block ×3, first 2 shown]
	v_sub_f32_e32 v214, v209, v205
	v_add_f32_e32 v209, v177, v209
	v_add_f32_e32 v245, v194, v190
	v_sub_f32_e32 v248, v194, v190
	v_add_f32_e32 v188, v203, v188
	v_add_f32_e32 v190, v192, v190
	;; [unrolled: 1-line block ×5, first 2 shown]
	v_sub_f32_e32 v250, v185, v181
	v_add_f32_e32 v185, v165, v185
	v_sub_f32_e32 v251, v184, v180
	v_add_f32_e32 v184, v166, v186
	v_fma_f32 v177, -0.5, v215, v177
	v_add_f32_e32 v252, v186, v182
	v_sub_f32_e32 v216, v186, v182
	v_add_f32_e32 v181, v185, v181
	v_add_f32_e32 v182, v184, v182
	v_fmamk_f32 v184, v214, 0xbf5db3d7, v176
	v_fmamk_f32 v185, v208, 0x3f5db3d7, v177
	v_fmac_f32_e32 v176, 0x3f5db3d7, v214
	v_fmac_f32_e32 v177, 0xbf5db3d7, v208
	v_add_f32_e32 v237, v211, v207
	v_sub_f32_e32 v238, v211, v207
	v_add_f32_e32 v211, v179, v211
	v_add_f32_e32 v205, v209, v205
	v_fma_f32 v178, -0.5, v235, v178
	v_fmac_f32_e32 v179, -0.5, v237
	v_add_f32_e32 v209, v200, v196
	v_add_f32_e32 v207, v211, v207
	;; [unrolled: 1-line block ×3, first 2 shown]
	v_sub_f32_e32 v200, v200, v196
	v_add_f32_e32 v253, v187, v183
	v_sub_f32_e32 v254, v187, v183
	v_add_f32_e32 v187, v167, v187
	v_fma_f32 v172, -0.5, v209, v172
	v_fma_f32 v173, -0.5, v213, v173
	v_add_f32_e32 v196, v211, v196
	v_add_f32_e32 v239, v202, v198
	;; [unrolled: 1-line block ×3, first 2 shown]
	v_fmamk_f32 v186, v236, 0xbf5db3d7, v172
	v_fmamk_f32 v187, v200, 0x3f5db3d7, v173
	v_fmac_f32_e32 v172, 0x3f5db3d7, v236
	v_fmac_f32_e32 v173, 0xbf5db3d7, v200
	v_add_f32_e32 v240, v174, v202
	v_sub_f32_e32 v202, v202, v198
	v_add_f32_e32 v211, v193, v189
	v_fma_f32 v174, -0.5, v239, v174
	v_fmac_f32_e32 v175, -0.5, v241
	v_add_f32_e32 v198, v240, v198
	v_sub_f32_e32 v240, v193, v189
	v_add_f32_e32 v193, v169, v193
	v_add_f32_e32 v180, v192, v180
	v_fmamk_f32 v192, v242, 0xbf5db3d7, v174
	v_fmac_f32_e32 v174, 0x3f5db3d7, v242
	v_add_f32_e32 v246, v195, v191
	v_add_f32_e32 v189, v193, v189
	v_fmamk_f32 v193, v202, 0x3f5db3d7, v175
	v_fmac_f32_e32 v175, 0xbf5db3d7, v202
	v_sub_f32_e32 v247, v195, v191
	v_add_f32_e32 v195, v171, v195
	v_fma_f32 v168, -0.5, v201, v168
	v_fma_f32 v169, -0.5, v211, v169
	;; [unrolled: 1-line block ×3, first 2 shown]
	v_fmac_f32_e32 v171, -0.5, v246
	v_add_f32_e32 v191, v195, v191
	v_fmamk_f32 v194, v240, 0xbf5db3d7, v168
	v_fmamk_f32 v195, v243, 0x3f5db3d7, v169
	v_fmac_f32_e32 v168, 0x3f5db3d7, v240
	v_fmac_f32_e32 v169, 0xbf5db3d7, v243
	v_fmamk_f32 v200, v247, 0xbf5db3d7, v170
	v_fmamk_f32 v201, v248, 0x3f5db3d7, v171
	v_fmac_f32_e32 v170, 0x3f5db3d7, v247
	v_fmac_f32_e32 v171, 0xbf5db3d7, v248
	v_fma_f32 v164, -0.5, v203, v164
	v_fma_f32 v165, -0.5, v249, v165
	v_add_f32_e32 v208, v228, v226
	v_add_f32_e32 v209, v229, v227
	v_fma_f32 v166, -0.5, v252, v166
	v_fmamk_f32 v202, v250, 0xbf5db3d7, v164
	v_fmamk_f32 v203, v251, 0x3f5db3d7, v165
	v_fmac_f32_e32 v164, 0x3f5db3d7, v250
	v_fmac_f32_e32 v165, 0xbf5db3d7, v251
	v_fmac_f32_e32 v167, -0.5, v253
	v_sub_f32_e32 v211, v227, v229
	s_waitcnt vmcnt(0)
	ds_write_b64 v212, v[176:177] offset:16
	buffer_load_dword v176, off, s[16:19], 0 offset:232 ; 4-byte Folded Reload
	ds_write2_b64 v212, v[204:205], v[184:185] offset1:1
	v_fmamk_f32 v184, v238, 0xbf5db3d7, v178
	v_fmamk_f32 v185, v210, 0x3f5db3d7, v179
	v_fmac_f32_e32 v178, 0x3f5db3d7, v238
	v_fmac_f32_e32 v179, 0xbf5db3d7, v210
	v_add_f32_e32 v210, v230, v226
	v_fmac_f32_e32 v230, -0.5, v208
	v_add_f32_e32 v208, v231, v227
	v_fmac_f32_e32 v231, -0.5, v209
	v_sub_f32_e32 v209, v226, v228
	v_fmamk_f32 v204, v254, 0xbf5db3d7, v166
	v_fmamk_f32 v205, v216, 0x3f5db3d7, v167
	v_add_f32_e32 v226, v228, v210
	v_add_f32_e32 v227, v229, v208
	v_fmamk_f32 v228, v211, 0xbf5db3d7, v230
	v_fmac_f32_e32 v230, 0x3f5db3d7, v211
	v_fmamk_f32 v229, v209, 0x3f5db3d7, v231
	v_fmac_f32_e32 v231, 0xbf5db3d7, v209
	v_fmac_f32_e32 v166, 0x3f5db3d7, v254
	;; [unrolled: 1-line block ×3, first 2 shown]
	s_waitcnt vmcnt(0)
	ds_write2_b64 v176, v[206:207], v[184:185] offset1:1
	ds_write_b64 v176, v[178:179] offset:16
	buffer_load_dword v176, off, s[16:19], 0 offset:240 ; 4-byte Folded Reload
	s_waitcnt vmcnt(0)
	ds_write2_b64 v176, v[196:197], v[186:187] offset1:1
	ds_write_b64 v176, v[172:173] offset:16
	buffer_load_dword v172, off, s[16:19], 0 offset:236 ; 4-byte Folded Reload
	;; [unrolled: 4-line block ×6, first 2 shown]
	s_waitcnt vmcnt(0)
	ds_write2_b64 v164, v[182:183], v[204:205] offset1:1
	ds_write_b64 v164, v[166:167] offset:16
	s_and_saveexec_b32 s1, vcc_lo
	s_cbranch_execz .LBB0_21
; %bb.20:
	buffer_load_dword v164, off, s[16:19], 0 offset:280 ; 4-byte Folded Reload
	s_waitcnt vmcnt(0)
	v_lshlrev_b32_e32 v164, 3, v164
	ds_write2_b64 v164, v[226:227], v[228:229] offset1:1
	ds_write_b64 v164, v[230:231] offset:16
.LBB0_21:
	s_or_b32 exec_lo, exec_lo, s1
	v_add_nc_u32_e32 v164, 0x1000, v255
	v_add_nc_u32_e32 v165, 0x2000, v255
	s_waitcnt lgkmcnt(0)
	s_barrier
	buffer_gl0_inv
	ds_read2_b64 v[176:179], v255 offset1:63
	ds_read2_b64 v[208:211], v164 offset0:13 offset1:76
	ds_read2_b64 v[204:207], v165 offset0:26 offset1:89
	;; [unrolled: 1-line block ×4, first 2 shown]
	v_add_nc_u32_e32 v164, 0x400, v255
	v_add_nc_u32_e32 v180, 0x1800, v255
	;; [unrolled: 1-line block ×4, first 2 shown]
	ds_read2_b64 v[200:203], v165 offset0:152 offset1:215
	ds_read2_b64 v[172:175], v164 offset0:124 offset1:187
	;; [unrolled: 1-line block ×7, first 2 shown]
	s_and_saveexec_b32 s1, vcc_lo
	s_cbranch_execz .LBB0_23
; %bb.22:
	ds_read_b64 v[226:227], v255 offset:4032
	ds_read_b64 v[228:229], v255 offset:8232
	;; [unrolled: 1-line block ×3, first 2 shown]
.LBB0_23:
	s_or_b32 exec_lo, exec_lo, s1
	s_waitcnt lgkmcnt(10)
	v_mul_f32_e32 v212, v49, v209
	v_mul_f32_e32 v49, v49, v208
	s_waitcnt lgkmcnt(0)
	s_barrier
	buffer_gl0_inv
	v_fmac_f32_e32 v212, v48, v208
	v_fma_f32 v48, v48, v209, -v49
	v_mul_f32_e32 v49, v51, v205
	v_mul_f32_e32 v51, v51, v204
	v_fmac_f32_e32 v49, v50, v204
	v_fma_f32 v50, v50, v205, -v51
	v_mul_f32_e32 v51, v37, v211
	v_mul_f32_e32 v37, v37, v210
	;; [unrolled: 4-line block ×4, first 2 shown]
	v_fmac_f32_e32 v39, v28, v196
	v_mul_f32_e32 v196, v17, v199
	v_mul_f32_e32 v17, v17, v198
	v_fma_f32 v28, v28, v197, -v29
	v_mul_f32_e32 v29, v31, v201
	v_mul_f32_e32 v31, v31, v200
	v_fmac_f32_e32 v196, v16, v198
	v_fma_f32 v197, v16, v199, -v17
	v_mul_f32_e32 v16, v19, v202
	v_fmac_f32_e32 v29, v30, v200
	v_mul_f32_e32 v200, v45, v193
	v_fma_f32 v30, v30, v201, -v31
	v_mul_f32_e32 v198, v19, v203
	v_fma_f32 v199, v18, v203, -v16
	v_mul_f32_e32 v16, v45, v192
	v_fmac_f32_e32 v200, v44, v192
	v_mul_f32_e32 v45, v47, v189
	v_add_f32_e32 v17, v51, v37
	v_fmac_f32_e32 v198, v18, v202
	v_fma_f32 v44, v44, v193, -v16
	v_mul_f32_e32 v16, v47, v188
	v_fmac_f32_e32 v45, v46, v188
	v_sub_f32_e32 v18, v212, v49
	v_add_f32_e32 v19, v178, v51
	v_fma_f32 v178, -0.5, v17, v178
	v_fma_f32 v46, v46, v189, -v16
	v_mul_f32_e32 v16, v41, v194
	v_mul_f32_e32 v189, v43, v191
	v_sub_f32_e32 v31, v51, v37
	v_mul_f32_e32 v47, v41, v195
	v_add_f32_e32 v41, v197, v199
	v_fma_f32 v188, v40, v195, -v16
	v_mul_f32_e32 v16, v43, v190
	v_fmac_f32_e32 v189, v42, v190
	v_fmac_f32_e32 v47, v40, v194
	v_sub_f32_e32 v40, v197, v199
	v_fma_f32 v190, v42, v191, -v16
	v_mul_f32_e32 v191, v21, v185
	v_mul_f32_e32 v16, v21, v184
	v_add_f32_e32 v21, v36, v38
	v_fmac_f32_e32 v191, v20, v184
	v_fma_f32 v184, v20, v185, -v16
	v_mul_f32_e32 v185, v23, v181
	v_mul_f32_e32 v16, v23, v180
	v_add_f32_e32 v23, v39, v29
	v_sub_f32_e32 v20, v36, v38
	v_add_f32_e32 v51, v165, v184
	v_fmac_f32_e32 v185, v22, v180
	v_fma_f32 v180, v22, v181, -v16
	v_mul_f32_e32 v181, v13, v187
	v_mul_f32_e32 v13, v13, v186
	v_add_f32_e32 v22, v179, v36
	v_fmac_f32_e32 v179, -0.5, v21
	v_add_f32_e32 v36, v168, v39
	v_fmac_f32_e32 v181, v12, v186
	v_fma_f32 v186, v12, v187, -v13
	v_mul_f32_e32 v187, v15, v183
	v_mul_f32_e32 v13, v15, v182
	;; [unrolled: 1-line block ×4, first 2 shown]
	v_add_f32_e32 v15, v212, v49
	v_fmac_f32_e32 v187, v14, v182
	v_fma_f32 v182, v14, v183, -v13
	v_mul_f32_e32 v13, v11, v231
	v_mul_f32_e32 v11, v11, v230
	v_fmac_f32_e32 v12, v8, v228
	v_fma_f32 v14, v8, v229, -v9
	v_fma_f32 v8, -0.5, v15, v176
	v_sub_f32_e32 v9, v48, v50
	v_fma_f32 v15, v10, v231, -v11
	v_add_f32_e32 v11, v48, v50
	v_fmac_f32_e32 v13, v10, v230
	v_add_f32_e32 v21, v22, v38
	v_fmamk_f32 v10, v9, 0xbf5db3d7, v8
	v_fmac_f32_e32 v8, 0x3f5db3d7, v9
	v_fma_f32 v9, -0.5, v11, v177
	v_add_f32_e32 v11, v177, v48
	buffer_load_dword v177, off, s[16:19], 0 offset:224 ; 4-byte Folded Reload
	v_fma_f32 v22, -0.5, v23, v168
	v_add_f32_e32 v23, v28, v30
	v_add_f32_e32 v16, v176, v212
	;; [unrolled: 1-line block ×3, first 2 shown]
	v_fmamk_f32 v11, v18, 0x3f5db3d7, v9
	v_fmac_f32_e32 v9, 0xbf5db3d7, v18
	v_fmamk_f32 v18, v20, 0xbf5db3d7, v178
	v_fmac_f32_e32 v178, 0x3f5db3d7, v20
	v_add_f32_e32 v20, v19, v37
	v_fmamk_f32 v19, v31, 0x3f5db3d7, v179
	v_fmac_f32_e32 v179, 0xbf5db3d7, v31
	v_sub_f32_e32 v31, v28, v30
	v_add_f32_e32 v37, v169, v28
	v_fma_f32 v23, -0.5, v23, v169
	v_add_f32_e32 v28, v36, v29
	v_sub_f32_e32 v36, v39, v29
	v_add_f32_e32 v38, v196, v198
	v_add_f32_e32 v39, v170, v196
	;; [unrolled: 1-line block ×4, first 2 shown]
	v_fmamk_f32 v30, v31, 0xbf5db3d7, v22
	v_fmac_f32_e32 v22, 0x3f5db3d7, v31
	v_fma_f32 v170, -0.5, v38, v170
	v_fmamk_f32 v31, v36, 0x3f5db3d7, v23
	v_fmac_f32_e32 v23, 0xbf5db3d7, v36
	v_add_f32_e32 v36, v39, v198
	v_add_f32_e32 v39, v200, v45
	v_fmamk_f32 v38, v40, 0xbf5db3d7, v170
	v_fmac_f32_e32 v170, 0x3f5db3d7, v40
	v_add_f32_e32 v37, v171, v197
	v_fmac_f32_e32 v171, -0.5, v41
	v_fma_f32 v40, -0.5, v39, v172
	v_sub_f32_e32 v41, v196, v198
	v_add_f32_e32 v48, v175, v188
	v_add_f32_e32 v50, v164, v191
	;; [unrolled: 1-line block ×3, first 2 shown]
	v_sub_f32_e32 v176, v181, v187
	v_fmamk_f32 v39, v41, 0x3f5db3d7, v171
	v_fmac_f32_e32 v171, 0xbf5db3d7, v41
	v_add_f32_e32 v37, v37, v199
	v_add_f32_e32 v169, v168, v182
	;; [unrolled: 1-line block ×4, first 2 shown]
	s_waitcnt vmcnt(0)
	ds_write2_b64 v177, v[16:17], v[10:11] offset1:3
	v_sub_f32_e32 v10, v44, v46
	v_add_f32_e32 v11, v172, v200
	v_add_f32_e32 v17, v44, v46
	ds_write_b64 v177, v[8:9] offset:48
	v_sub_f32_e32 v9, v14, v15
	v_fmamk_f32 v16, v10, 0xbf5db3d7, v40
	v_fmac_f32_e32 v40, 0x3f5db3d7, v10
	v_add_f32_e32 v10, v47, v189
	v_fma_f32 v41, -0.5, v17, v173
	v_add_f32_e32 v42, v11, v45
	v_add_f32_e32 v11, v173, v44
	v_sub_f32_e32 v44, v200, v45
	v_add_f32_e32 v45, v174, v47
	v_fma_f32 v174, -0.5, v10, v174
	v_sub_f32_e32 v10, v188, v190
	v_add_f32_e32 v43, v11, v46
	v_fmamk_f32 v17, v44, 0x3f5db3d7, v41
	v_fmac_f32_e32 v41, 0xbf5db3d7, v44
	v_add_f32_e32 v11, v188, v190
	v_fmamk_f32 v44, v10, 0xbf5db3d7, v174
	v_fmac_f32_e32 v174, 0x3f5db3d7, v10
	v_add_f32_e32 v10, v191, v185
	v_add_f32_e32 v46, v45, v189
	v_fmac_f32_e32 v175, -0.5, v11
	v_sub_f32_e32 v11, v47, v189
	v_add_f32_e32 v47, v48, v190
	v_fma_f32 v48, -0.5, v10, v164
	v_add_f32_e32 v10, v184, v180
	v_sub_f32_e32 v173, v186, v182
	v_fmamk_f32 v45, v11, 0x3f5db3d7, v175
	v_fmac_f32_e32 v175, 0xbf5db3d7, v11
	v_sub_f32_e32 v11, v184, v180
	v_fma_f32 v49, -0.5, v10, v165
	v_sub_f32_e32 v10, v191, v185
	v_add_f32_e32 v165, v181, v187
	v_sub_f32_e32 v177, v12, v13
	v_fmamk_f32 v164, v11, 0xbf5db3d7, v48
	v_fmac_f32_e32 v48, 0x3f5db3d7, v11
	v_add_f32_e32 v11, v166, v181
	v_fma_f32 v166, -0.5, v165, v166
	v_fmamk_f32 v165, v10, 0x3f5db3d7, v49
	v_fmac_f32_e32 v49, 0xbf5db3d7, v10
	v_add_f32_e32 v10, v186, v182
	v_add_f32_e32 v168, v11, v187
	v_fmamk_f32 v172, v173, 0xbf5db3d7, v166
	v_fmac_f32_e32 v166, 0x3f5db3d7, v173
	v_add_f32_e32 v11, v13, v12
	v_fmac_f32_e32 v167, -0.5, v10
	v_add_f32_e32 v173, v15, v14
	v_fma_f32 v10, -0.5, v11, v226
	v_fma_f32 v11, -0.5, v173, v227
	v_fmamk_f32 v173, v176, 0x3f5db3d7, v167
	v_fmac_f32_e32 v167, 0xbf5db3d7, v176
	buffer_load_dword v176, off, s[16:19], 0 offset:220 ; 4-byte Folded Reload
	v_fmamk_f32 v8, v9, 0xbf5db3d7, v10
	v_fmac_f32_e32 v10, 0x3f5db3d7, v9
	v_fmamk_f32 v9, v177, 0x3f5db3d7, v11
	v_fmac_f32_e32 v11, 0xbf5db3d7, v177
	s_waitcnt vmcnt(0)
	ds_write2_b64 v176, v[20:21], v[18:19] offset1:3
	ds_write_b64 v176, v[178:179] offset:48
	buffer_load_dword v18, off, s[16:19], 0 offset:216 ; 4-byte Folded Reload
	s_waitcnt vmcnt(0)
	ds_write2_b64 v18, v[28:29], v[30:31] offset1:3
	ds_write_b64 v18, v[22:23] offset:48
	buffer_load_dword v18, off, s[16:19], 0 offset:212 ; 4-byte Folded Reload
	;; [unrolled: 4-line block ×6, first 2 shown]
	s_waitcnt vmcnt(0)
	ds_write2_b64 v16, v[168:169], v[172:173] offset1:3
	ds_write_b64 v16, v[166:167] offset:48
	s_and_saveexec_b32 s1, vcc_lo
	s_cbranch_execz .LBB0_25
; %bb.24:
	v_add_f32_e32 v12, v226, v12
	v_add_f32_e32 v14, v227, v14
	v_mov_b32_e32 v16, 3
	v_add_f32_e32 v13, v13, v12
	buffer_load_dword v12, off, s[16:19], 0 offset:192 ; 4-byte Folded Reload
	v_add_f32_e32 v14, v15, v14
	s_waitcnt vmcnt(0)
	v_lshlrev_b32_sdwa v12, v16, v12 dst_sel:DWORD dst_unused:UNUSED_PAD src0_sel:DWORD src1_sel:WORD_0
	ds_write2_b64 v12, v[13:14], v[8:9] offset1:3
	ds_write_b64 v12, v[10:11] offset:48
.LBB0_25:
	s_or_b32 exec_lo, exec_lo, s1
	v_add_nc_u32_e32 v12, 0x400, v255
	v_add_nc_u32_e32 v36, 0x1000, v255
	s_waitcnt lgkmcnt(0)
	s_barrier
	buffer_gl0_inv
	ds_read2_b64 v[12:15], v12 offset0:124 offset1:187
	ds_read2_b64 v[16:19], v36 offset0:118 offset1:181
	v_add_nc_u32_e32 v40, 0x800, v255
	v_add_nc_u32_e32 v164, 0x1400, v255
	;; [unrolled: 1-line block ×4, first 2 shown]
	ds_read2_b64 v[20:23], v40 offset0:122 offset1:185
	ds_read2_b64 v[165:168], v164 offset0:116 offset1:179
	;; [unrolled: 1-line block ×3, first 2 shown]
	s_waitcnt lgkmcnt(4)
	v_mul_f32_e32 v28, v33, v15
	v_mul_f32_e32 v29, v33, v14
	s_waitcnt lgkmcnt(3)
	v_mul_f32_e32 v30, v35, v17
	v_mul_f32_e32 v31, v35, v16
	v_mul_f32_e32 v173, v27, v19
	v_fmac_f32_e32 v28, v32, v14
	v_mul_f32_e32 v14, v27, v18
	v_fma_f32 v174, v32, v15, -v29
	v_fmac_f32_e32 v30, v34, v16
	v_fma_f32 v31, v34, v17, -v31
	s_waitcnt lgkmcnt(2)
	v_mul_f32_e32 v175, v25, v21
	v_mul_f32_e32 v15, v25, v20
	v_fmac_f32_e32 v173, v26, v18
	v_fma_f32 v29, v26, v19, -v14
	ds_read2_b64 v[16:19], v38 offset0:114 offset1:177
	v_mul_f32_e32 v46, v121, v23
	v_fmac_f32_e32 v175, v24, v20
	v_fma_f32 v51, v24, v21, -v15
	v_mul_f32_e32 v14, v121, v22
	v_add_nc_u32_e32 v20, 0x2400, v255
	s_waitcnt lgkmcnt(1)
	v_mul_f32_e32 v24, v117, v169
	v_add_nc_u32_e32 v25, 0x1c00, v255
	v_fmac_f32_e32 v46, v120, v22
	v_fma_f32 v45, v120, v23, -v14
	ds_read2_b64 v[20:23], v20 offset0:108 offset1:171
	v_fma_f32 v44, v116, v170, -v24
	ds_read2_b64 v[24:27], v25 offset0:112 offset1:175
	v_mul_f32_e32 v15, v123, v165
	v_mul_f32_e32 v32, v113, v171
	;; [unrolled: 1-line block ×5, first 2 shown]
	v_fma_f32 v50, v122, v166, -v15
	v_mul_f32_e32 v15, v119, v167
	s_waitcnt lgkmcnt(2)
	v_mul_f32_e32 v35, v115, v17
	v_mul_f32_e32 v33, v113, v172
	v_fma_f32 v34, v112, v172, -v32
	v_mul_f32_e32 v39, v115, v16
	v_mul_f32_e32 v117, v5, v19
	v_fmac_f32_e32 v35, v114, v16
	v_mul_f32_e32 v16, v5, v18
	v_add_nc_u32_e32 v32, 0x2800, v255
	v_fmac_f32_e32 v49, v122, v165
	v_fmac_f32_e32 v43, v118, v167
	v_fma_f32 v15, v118, v168, -v15
	v_fmac_f32_e32 v33, v112, v171
	v_fma_f32 v5, v114, v17, -v39
	s_waitcnt lgkmcnt(1)
	v_mul_f32_e32 v118, v7, v21
	v_fmac_f32_e32 v117, v4, v18
	v_fma_f32 v119, v4, v19, -v16
	ds_read2_b64 v[16:19], v32 offset0:106 offset1:169
	v_mul_f32_e32 v4, v7, v20
	v_add_nc_u32_e32 v112, 0x2000, v255
	s_waitcnt lgkmcnt(1)
	v_mul_f32_e32 v122, v1, v25
	v_mul_f32_e32 v1, v1, v24
	v_fmac_f32_e32 v14, v116, v169
	v_fmac_f32_e32 v118, v6, v20
	v_mul_f32_e32 v120, v3, v23
	v_mul_f32_e32 v3, v3, v22
	v_fma_f32 v121, v6, v21, -v4
	ds_read2_b64 v[113:116], v112 offset0:110 offset1:173
	v_mul_f32_e32 v165, v109, v27
	v_fmac_f32_e32 v122, v0, v24
	v_fma_f32 v166, v0, v25, -v1
	v_mul_f32_e32 v0, v109, v26
	ds_read_b64 v[20:21], v255 offset:12096
	v_fmac_f32_e32 v120, v2, v22
	v_fma_f32 v123, v2, v23, -v3
	v_fmac_f32_e32 v165, v108, v26
	v_fma_f32 v108, v108, v27, -v0
	ds_read2_b64 v[0:3], v255 offset1:63
	s_waitcnt lgkmcnt(3)
	v_mul_f32_e32 v167, v111, v17
	v_mul_f32_e32 v4, v111, v16
	;; [unrolled: 1-line block ×3, first 2 shown]
	v_add_f32_e32 v23, v28, v118
	v_sub_f32_e32 v22, v117, v118
	v_fmac_f32_e32 v167, v110, v16
	v_fma_f32 v109, v110, v17, -v4
	v_add_f32_e32 v17, v30, v117
	v_mul_f32_e32 v4, v107, v18
	s_waitcnt lgkmcnt(2)
	v_mul_f32_e32 v16, v101, v115
	v_fmac_f32_e32 v47, v106, v18
	v_sub_f32_e32 v24, v31, v119
	v_sub_f32_e32 v26, v174, v31
	v_fma_f32 v4, v106, v19, -v4
	s_waitcnt lgkmcnt(1)
	v_mul_f32_e32 v7, v103, v21
	v_mul_f32_e32 v18, v103, v20
	v_fma_f32 v39, v100, v116, -v16
	v_sub_f32_e32 v19, v174, v121
	v_sub_f32_e32 v27, v121, v119
	s_waitcnt lgkmcnt(0)
	v_fma_f32 v16, -0.5, v17, v0
	v_fmac_f32_e32 v7, v102, v20
	v_sub_f32_e32 v17, v28, v30
	v_sub_f32_e32 v20, v118, v117
	v_fma_f32 v42, v102, v21, -v18
	v_sub_f32_e32 v21, v30, v28
	v_fmamk_f32 v18, v19, 0xbf737871, v16
	v_fmac_f32_e32 v16, 0x3f737871, v19
	v_add_f32_e32 v25, v17, v20
	v_fma_f32 v20, -0.5, v23, v0
	v_add_f32_e32 v21, v21, v22
	v_add_f32_e32 v22, v0, v28
	v_fmac_f32_e32 v18, 0xbf167918, v24
	v_add_f32_e32 v17, v31, v119
	v_fmamk_f32 v0, v24, 0x3f737871, v20
	v_fmac_f32_e32 v20, 0xbf737871, v24
	v_fmac_f32_e32 v16, 0x3f167918, v24
	v_add_f32_e32 v23, v1, v174
	v_fma_f32 v17, -0.5, v17, v1
	v_fmac_f32_e32 v0, 0xbf167918, v19
	v_fmac_f32_e32 v20, 0x3f167918, v19
	;; [unrolled: 1-line block ×4, first 2 shown]
	v_add_f32_e32 v19, v23, v31
	v_fmac_f32_e32 v0, 0x3e9e377a, v21
	v_fmac_f32_e32 v20, 0x3e9e377a, v21
	v_sub_f32_e32 v25, v28, v118
	v_add_f32_e32 v21, v174, v121
	v_sub_f32_e32 v24, v30, v117
	v_add_f32_e32 v23, v19, v119
	v_add_f32_e32 v26, v26, v27
	v_fmamk_f32 v19, v25, 0x3f737871, v17
	v_fma_f32 v21, -0.5, v21, v1
	v_sub_f32_e32 v27, v31, v174
	v_fmac_f32_e32 v17, 0xbf737871, v25
	v_sub_f32_e32 v28, v119, v121
	v_mul_f32_e32 v41, v101, v116
	v_add_f32_e32 v22, v22, v30
	v_fmac_f32_e32 v19, 0x3f167918, v24
	v_fmamk_f32 v1, v24, 0xbf737871, v21
	v_add_f32_e32 v30, v173, v122
	v_fmac_f32_e32 v17, 0xbf167918, v24
	v_add_f32_e32 v27, v27, v28
	v_fmac_f32_e32 v21, 0x3f737871, v24
	v_sub_f32_e32 v24, v175, v173
	v_sub_f32_e32 v28, v120, v122
	v_fmac_f32_e32 v41, v100, v115
	v_fmac_f32_e32 v19, 0x3e9e377a, v26
	;; [unrolled: 1-line block ×3, first 2 shown]
	v_add_f32_e32 v26, v175, v120
	v_add_f32_e32 v100, v24, v28
	v_fma_f32 v24, -0.5, v30, v2
	v_sub_f32_e32 v30, v51, v123
	v_add_f32_e32 v31, v2, v175
	v_fma_f32 v2, -0.5, v26, v2
	v_sub_f32_e32 v101, v29, v166
	v_fmac_f32_e32 v1, 0x3f167918, v25
	v_fmamk_f32 v26, v30, 0xbf737871, v24
	v_fmac_f32_e32 v24, 0x3f737871, v30
	v_fmac_f32_e32 v21, 0xbf167918, v25
	v_sub_f32_e32 v25, v173, v175
	v_sub_f32_e32 v28, v122, v120
	v_fmac_f32_e32 v26, 0xbf167918, v101
	v_fmac_f32_e32 v24, 0x3f167918, v101
	;; [unrolled: 1-line block ×4, first 2 shown]
	v_add_f32_e32 v27, v25, v28
	v_fmamk_f32 v28, v101, 0x3f737871, v2
	v_fmac_f32_e32 v2, 0xbf737871, v101
	v_fmac_f32_e32 v26, 0x3e9e377a, v100
	v_add_f32_e32 v31, v31, v173
	v_fmac_f32_e32 v24, 0x3e9e377a, v100
	v_add_f32_e32 v100, v3, v51
	v_add_f32_e32 v25, v29, v166
	v_fmac_f32_e32 v28, 0xbf167918, v30
	v_fmac_f32_e32 v2, 0x3f167918, v30
	v_add_f32_e32 v30, v31, v122
	v_add_f32_e32 v31, v51, v123
	v_add_f32_e32 v100, v100, v29
	v_mul_f32_e32 v48, v105, v114
	v_mul_f32_e32 v6, v105, v113
	v_fma_f32 v25, -0.5, v25, v3
	v_fmac_f32_e32 v3, -0.5, v31
	v_add_f32_e32 v31, v100, v166
	v_sub_f32_e32 v106, v51, v29
	v_sub_f32_e32 v107, v123, v166
	ds_read2_b64 v[100:103], v255 offset0:126 offset1:189
	v_fmac_f32_e32 v48, v104, v113
	v_fma_f32 v6, v104, v114, -v6
	v_sub_f32_e32 v104, v173, v122
	v_add_f32_e32 v106, v106, v107
	v_sub_f32_e32 v51, v29, v51
	v_sub_f32_e32 v107, v166, v123
	;; [unrolled: 1-line block ×3, first 2 shown]
	v_fmamk_f32 v29, v104, 0xbf737871, v3
	v_fmac_f32_e32 v3, 0x3f737871, v104
	v_sub_f32_e32 v110, v167, v165
	v_add_f32_e32 v51, v51, v107
	v_sub_f32_e32 v107, v46, v49
	v_fmac_f32_e32 v28, 0x3e9e377a, v27
	v_fmac_f32_e32 v2, 0x3e9e377a, v27
	v_fmamk_f32 v27, v105, 0x3f737871, v25
	v_fmac_f32_e32 v25, 0xbf737871, v105
	v_fmac_f32_e32 v29, 0x3f167918, v105
	v_fmac_f32_e32 v3, 0xbf167918, v105
	v_sub_f32_e32 v105, v49, v46
	v_sub_f32_e32 v111, v165, v167
	v_add_f32_e32 v107, v107, v110
	v_add_f32_e32 v110, v46, v167
	v_fmac_f32_e32 v29, 0x3e9e377a, v51
	v_fmac_f32_e32 v3, 0x3e9e377a, v51
	v_add_f32_e32 v51, v105, v111
	v_sub_f32_e32 v105, v50, v108
	s_waitcnt lgkmcnt(0)
	v_fma_f32 v110, -0.5, v110, v100
	v_sub_f32_e32 v114, v45, v109
	v_fmac_f32_e32 v27, 0x3f167918, v104
	v_fmac_f32_e32 v25, 0xbf167918, v104
	v_add_f32_e32 v104, v49, v165
	v_fmamk_f32 v113, v105, 0x3f737871, v110
	v_fmac_f32_e32 v110, 0xbf737871, v105
	v_fmac_f32_e32 v27, 0x3e9e377a, v106
	;; [unrolled: 1-line block ×3, first 2 shown]
	v_fma_f32 v104, -0.5, v104, v100
	v_fmac_f32_e32 v113, 0xbf167918, v114
	v_fmac_f32_e32 v110, 0x3f167918, v114
	v_add_f32_e32 v100, v100, v46
	v_sub_f32_e32 v46, v46, v167
	v_fmamk_f32 v106, v114, 0xbf737871, v104
	v_fmac_f32_e32 v113, 0x3e9e377a, v51
	v_fmac_f32_e32 v110, 0x3e9e377a, v51
	v_add_f32_e32 v51, v45, v109
	v_fmac_f32_e32 v104, 0x3f737871, v114
	v_fmac_f32_e32 v106, 0xbf167918, v105
	v_add_f32_e32 v100, v100, v49
	v_sub_f32_e32 v49, v49, v165
	v_fma_f32 v111, -0.5, v51, v101
	v_add_f32_e32 v51, v101, v45
	v_fmac_f32_e32 v104, 0x3f167918, v105
	v_add_f32_e32 v105, v50, v108
	v_fmac_f32_e32 v106, 0x3e9e377a, v107
	v_fmamk_f32 v114, v49, 0xbf737871, v111
	v_add_f32_e32 v51, v51, v50
	v_fmac_f32_e32 v104, 0x3e9e377a, v107
	v_fma_f32 v105, -0.5, v105, v101
	v_sub_f32_e32 v107, v109, v108
	v_fmac_f32_e32 v111, 0x3f737871, v49
	v_add_f32_e32 v51, v51, v108
	v_fmac_f32_e32 v114, 0x3f167918, v46
	v_sub_f32_e32 v116, v33, v7
	v_fmac_f32_e32 v111, 0xbf167918, v46
	v_add_f32_e32 v101, v51, v109
	v_sub_f32_e32 v51, v45, v50
	v_sub_f32_e32 v45, v50, v45
	;; [unrolled: 1-line block ×3, first 2 shown]
	v_add_f32_e32 v109, v102, v14
	v_add_f32_e32 v108, v14, v47
	;; [unrolled: 1-line block ×3, first 2 shown]
	v_fmamk_f32 v107, v46, 0x3f737871, v105
	v_fmac_f32_e32 v105, 0xbf737871, v46
	v_sub_f32_e32 v46, v43, v14
	s_barrier
	buffer_gl0_inv
	v_fmac_f32_e32 v107, 0x3f167918, v49
	v_fmac_f32_e32 v105, 0xbf167918, v49
	v_add_f32_e32 v49, v45, v50
	v_sub_f32_e32 v45, v14, v43
	v_sub_f32_e32 v50, v47, v48
	v_fmac_f32_e32 v107, 0x3e9e377a, v51
	v_fmac_f32_e32 v105, 0x3e9e377a, v51
	v_add_f32_e32 v51, v43, v48
	v_fmac_f32_e32 v114, 0x3e9e377a, v49
	v_add_f32_e32 v50, v45, v50
	v_fmac_f32_e32 v111, 0x3e9e377a, v49
	v_sub_f32_e32 v49, v48, v47
	v_fma_f32 v45, -0.5, v51, v102
	v_sub_f32_e32 v51, v44, v4
	v_fma_f32 v102, -0.5, v108, v102
	v_add_f32_e32 v22, v22, v117
	v_add_f32_e32 v115, v46, v49
	v_sub_f32_e32 v46, v15, v6
	v_fmamk_f32 v49, v51, 0xbf737871, v45
	v_fmac_f32_e32 v45, 0x3f737871, v51
	v_add_f32_e32 v22, v22, v118
	v_add_f32_e32 v23, v23, v121
	v_fmamk_f32 v108, v46, 0x3f737871, v102
	v_fmac_f32_e32 v49, 0xbf167918, v46
	v_fmac_f32_e32 v45, 0x3f167918, v46
	;; [unrolled: 1-line block ×3, first 2 shown]
	v_add_f32_e32 v46, v15, v6
	v_fmac_f32_e32 v108, 0xbf167918, v51
	v_fmac_f32_e32 v49, 0x3e9e377a, v50
	v_fmac_f32_e32 v45, 0x3e9e377a, v50
	v_add_f32_e32 v50, v109, v43
	v_sub_f32_e32 v43, v43, v48
	v_fma_f32 v46, -0.5, v46, v103
	v_fmac_f32_e32 v102, 0x3f167918, v51
	v_sub_f32_e32 v51, v14, v47
	v_add_f32_e32 v50, v50, v48
	v_add_f32_e32 v48, v103, v44
	v_sub_f32_e32 v14, v44, v15
	v_sub_f32_e32 v109, v4, v6
	v_fmac_f32_e32 v108, 0x3e9e377a, v115
	v_add_f32_e32 v47, v50, v47
	v_add_f32_e32 v48, v48, v15
	v_sub_f32_e32 v15, v15, v44
	v_add_f32_e32 v44, v44, v4
	v_fmamk_f32 v50, v51, 0x3f737871, v46
	v_fmac_f32_e32 v46, 0xbf737871, v51
	v_add_f32_e32 v48, v48, v6
	v_fmac_f32_e32 v102, 0x3e9e377a, v115
	v_fmac_f32_e32 v103, -0.5, v44
	v_fmac_f32_e32 v50, 0x3f167918, v43
	v_fmac_f32_e32 v46, 0xbf167918, v43
	v_add_f32_e32 v48, v48, v4
	v_sub_f32_e32 v4, v6, v4
	v_add_f32_e32 v6, v14, v109
	v_add_f32_e32 v14, v35, v41
	v_fmamk_f32 v109, v43, 0xbf737871, v103
	v_fmac_f32_e32 v103, 0x3f737871, v43
	v_add_f32_e32 v4, v15, v4
	v_sub_f32_e32 v15, v33, v35
	v_sub_f32_e32 v43, v7, v41
	v_fma_f32 v14, -0.5, v14, v12
	v_fmac_f32_e32 v50, 0x3e9e377a, v6
	v_fmac_f32_e32 v46, 0x3e9e377a, v6
	;; [unrolled: 1-line block ×3, first 2 shown]
	v_add_f32_e32 v6, v33, v7
	v_fmac_f32_e32 v103, 0xbf167918, v51
	v_add_f32_e32 v15, v15, v43
	v_sub_f32_e32 v43, v34, v42
	v_add_f32_e32 v44, v12, v33
	v_fma_f32 v12, -0.5, v6, v12
	v_fmac_f32_e32 v109, 0x3e9e377a, v4
	v_fmac_f32_e32 v103, 0x3e9e377a, v4
	v_fmamk_f32 v4, v43, 0xbf737871, v14
	v_fmac_f32_e32 v14, 0x3f737871, v43
	v_sub_f32_e32 v51, v5, v39
	v_add_f32_e32 v44, v44, v35
	v_sub_f32_e32 v115, v41, v7
	v_add_f32_e32 v30, v30, v120
	v_add_f32_e32 v31, v31, v123
	v_fmac_f32_e32 v4, 0xbf167918, v51
	v_fmac_f32_e32 v14, 0x3f167918, v51
	v_fmamk_f32 v6, v51, 0x3f737871, v12
	v_fmac_f32_e32 v12, 0xbf737871, v51
	v_sub_f32_e32 v51, v35, v33
	v_fmac_f32_e32 v4, 0x3e9e377a, v15
	v_fmac_f32_e32 v14, 0x3e9e377a, v15
	v_add_f32_e32 v15, v5, v39
	v_fmac_f32_e32 v6, 0xbf167918, v43
	v_fmac_f32_e32 v12, 0x3f167918, v43
	v_add_f32_e32 v43, v13, v34
	v_add_f32_e32 v44, v44, v41
	v_sub_f32_e32 v35, v35, v41
	v_add_f32_e32 v41, v34, v42
	v_fma_f32 v15, -0.5, v15, v13
	v_add_f32_e32 v43, v43, v5
	v_add_f32_e32 v33, v44, v7
	v_sub_f32_e32 v7, v42, v39
	v_fmac_f32_e32 v13, -0.5, v41
	v_sub_f32_e32 v41, v34, v5
	v_add_f32_e32 v51, v51, v115
	v_add_f32_e32 v43, v43, v39
	v_sub_f32_e32 v115, v5, v34
	v_sub_f32_e32 v39, v39, v42
	v_fmamk_f32 v5, v116, 0x3f737871, v15
	v_fmac_f32_e32 v15, 0xbf737871, v116
	v_add_f32_e32 v41, v41, v7
	v_fmamk_f32 v7, v35, 0xbf737871, v13
	v_fmac_f32_e32 v13, 0x3f737871, v35
	v_fmac_f32_e32 v5, 0x3f167918, v35
	;; [unrolled: 1-line block ×3, first 2 shown]
	v_add_f32_e32 v35, v115, v39
	v_fmac_f32_e32 v7, 0x3f167918, v116
	v_fmac_f32_e32 v13, 0xbf167918, v116
	v_add_f32_e32 v100, v100, v165
	v_add_f32_e32 v34, v43, v42
	v_fmac_f32_e32 v5, 0x3e9e377a, v41
	v_fmac_f32_e32 v7, 0x3e9e377a, v35
	;; [unrolled: 1-line block ×3, first 2 shown]
	buffer_load_dword v35, off, s[16:19], 0 offset:260 ; 4-byte Folded Reload
	v_add_f32_e32 v100, v100, v167
	v_fmac_f32_e32 v6, 0x3e9e377a, v51
	v_fmac_f32_e32 v12, 0x3e9e377a, v51
	;; [unrolled: 1-line block ×3, first 2 shown]
	s_waitcnt vmcnt(0)
	ds_write2_b64 v35, v[22:23], v[18:19] offset1:9
	ds_write2_b64 v35, v[0:1], v[20:21] offset0:18 offset1:27
	ds_write_b64 v35, v[16:17] offset:288
	buffer_load_dword v0, off, s[16:19], 0 offset:264 ; 4-byte Folded Reload
	s_waitcnt vmcnt(0)
	ds_write2_b64 v0, v[30:31], v[26:27] offset1:9
	ds_write2_b64 v0, v[28:29], v[2:3] offset0:18 offset1:27
	ds_write_b64 v0, v[24:25] offset:288
	buffer_load_dword v0, off, s[16:19], 0 offset:268 ; 4-byte Folded Reload
	;; [unrolled: 5-line block ×4, first 2 shown]
	s_waitcnt vmcnt(0)
	ds_write2_b64 v0, v[33:34], v[4:5] offset1:9
	ds_write2_b64 v0, v[6:7], v[12:13] offset0:18 offset1:27
	ds_write_b64 v0, v[14:15] offset:288
	s_waitcnt lgkmcnt(0)
	s_barrier
	buffer_gl0_inv
	ds_read2_b64 v[16:19], v255 offset1:63
	ds_read2_b64 v[0:3], v255 offset0:126 offset1:225
	ds_read2_b64 v[48:51], v37 offset0:66 offset1:129
	;; [unrolled: 1-line block ×9, first 2 shown]
	ds_read_b64 v[100:101], v255 offset:11808
	s_and_saveexec_b32 s1, s0
	s_cbranch_execz .LBB0_27
; %bb.26:
	v_add_nc_u32_e32 v4, 0x500, v255
	v_add_nc_u32_e32 v8, 0x1380, v255
	;; [unrolled: 1-line block ×3, first 2 shown]
	ds_read2_b64 v[4:7], v4 offset0:29 offset1:254
	ds_read2_b64 v[12:15], v8 offset0:15 offset1:240
	;; [unrolled: 1-line block ×3, first 2 shown]
	ds_read_b64 v[224:225], v255 offset:12312
.LBB0_27:
	s_or_b32 exec_lo, exec_lo, s1
	s_waitcnt lgkmcnt(9)
	v_mul_f32_e32 v102, v65, v3
	v_mul_f32_e32 v65, v65, v2
	s_waitcnt lgkmcnt(8)
	v_mul_f32_e32 v103, v67, v49
	v_mul_f32_e32 v67, v67, v48
	s_waitcnt lgkmcnt(7)
	v_mul_f32_e32 v104, v85, v27
	v_fmac_f32_e32 v102, v64, v2
	v_mul_f32_e32 v2, v85, v26
	v_fma_f32 v3, v64, v3, -v65
	v_fmac_f32_e32 v103, v66, v48
	v_fma_f32 v48, v66, v49, -v67
	v_fmac_f32_e32 v104, v84, v26
	s_waitcnt lgkmcnt(6)
	v_mul_f32_e32 v26, v87, v45
	s_waitcnt lgkmcnt(5)
	v_mul_f32_e32 v49, v93, v23
	v_mul_f32_e32 v64, v93, v22
	s_waitcnt lgkmcnt(4)
	v_mul_f32_e32 v65, v95, v37
	v_fma_f32 v2, v84, v27, -v2
	v_mul_f32_e32 v27, v87, v44
	v_fmac_f32_e32 v26, v86, v44
	v_fmac_f32_e32 v49, v92, v22
	v_fma_f32 v22, v92, v23, -v64
	v_fmac_f32_e32 v65, v94, v36
	v_mul_f32_e32 v23, v95, v36
	s_waitcnt lgkmcnt(3)
	v_mul_f32_e32 v36, v89, v41
	v_mul_f32_e32 v44, v89, v40
	;; [unrolled: 1-line block ×3, first 2 shown]
	v_fma_f32 v27, v86, v45, -v27
	v_mul_f32_e32 v45, v91, v51
	v_fma_f32 v23, v94, v37, -v23
	v_fmac_f32_e32 v36, v88, v40
	v_fma_f32 v37, v88, v41, -v44
	v_fma_f32 v40, v90, v51, -v64
	s_waitcnt lgkmcnt(2)
	v_mul_f32_e32 v41, v73, v33
	v_mul_f32_e32 v44, v73, v32
	;; [unrolled: 1-line block ×3, first 2 shown]
	s_waitcnt lgkmcnt(1)
	v_mul_f32_e32 v64, v69, v29
	v_fmac_f32_e32 v45, v90, v50
	v_mul_f32_e32 v50, v75, v47
	v_fmac_f32_e32 v41, v72, v32
	v_fma_f32 v32, v72, v33, -v44
	v_fma_f32 v33, v74, v47, -v51
	v_fmac_f32_e32 v64, v68, v28
	v_mul_f32_e32 v28, v69, v28
	v_mul_f32_e32 v47, v77, v43
	v_mul_f32_e32 v51, v77, v42
	v_fmac_f32_e32 v50, v74, v46
	v_mul_f32_e32 v44, v71, v39
	v_fma_f32 v66, v68, v29, -v28
	v_fmac_f32_e32 v47, v76, v42
	v_fma_f32 v42, v76, v43, -v51
	v_mul_f32_e32 v28, v79, v24
	v_mul_f32_e32 v51, v83, v21
	v_mul_f32_e32 v43, v79, v25
	v_mul_f32_e32 v46, v71, v38
	v_mul_f32_e32 v29, v81, v34
	v_fma_f32 v67, v78, v25, -v28
	v_fmac_f32_e32 v51, v82, v20
	v_mul_f32_e32 v20, v83, v20
	s_waitcnt lgkmcnt(0)
	v_mul_f32_e32 v25, v99, v100
	v_fmac_f32_e32 v43, v78, v24
	v_mul_f32_e32 v69, v97, v31
	v_mul_f32_e32 v24, v97, v30
	v_fma_f32 v71, v82, v21, -v20
	v_fma_f32 v73, v98, v101, -v25
	v_add_f32_e32 v20, v102, v65
	v_add_f32_e32 v21, v3, v23
	v_sub_f32_e32 v3, v3, v23
	v_add_f32_e32 v23, v103, v49
	v_add_f32_e32 v25, v48, v22
	v_fmac_f32_e32 v44, v70, v38
	v_fma_f32 v38, v70, v39, -v46
	v_mul_f32_e32 v46, v81, v35
	v_fma_f32 v68, v80, v35, -v29
	v_fmac_f32_e32 v69, v96, v30
	v_fma_f32 v72, v96, v31, -v24
	v_sub_f32_e32 v24, v102, v65
	v_sub_f32_e32 v28, v103, v49
	;; [unrolled: 1-line block ×3, first 2 shown]
	v_add_f32_e32 v29, v104, v26
	v_add_f32_e32 v30, v2, v27
	v_sub_f32_e32 v26, v26, v104
	v_sub_f32_e32 v2, v27, v2
	v_add_f32_e32 v27, v23, v20
	v_add_f32_e32 v31, v25, v21
	v_fmac_f32_e32 v46, v80, v34
	v_sub_f32_e32 v34, v23, v20
	v_sub_f32_e32 v35, v25, v21
	;; [unrolled: 1-line block ×6, first 2 shown]
	v_add_f32_e32 v39, v26, v28
	v_add_f32_e32 v48, v2, v22
	v_sub_f32_e32 v49, v26, v28
	v_sub_f32_e32 v65, v2, v22
	v_sub_f32_e32 v28, v28, v24
	v_add_f32_e32 v27, v29, v27
	v_add_f32_e32 v29, v30, v31
	v_sub_f32_e32 v22, v22, v3
	v_sub_f32_e32 v26, v24, v26
	;; [unrolled: 1-line block ×3, first 2 shown]
	v_add_f32_e32 v24, v39, v24
	v_add_f32_e32 v30, v48, v3
	;; [unrolled: 1-line block ×4, first 2 shown]
	v_mul_f32_e32 v16, 0x3f4a47b2, v20
	v_mul_f32_e32 v17, 0x3f4a47b2, v21
	;; [unrolled: 1-line block ×8, first 2 shown]
	v_fmamk_f32 v27, v27, 0xbf955555, v2
	v_fmamk_f32 v29, v29, 0xbf955555, v3
	;; [unrolled: 1-line block ×4, first 2 shown]
	v_fma_f32 v20, 0x3f3bfb3b, v34, -v20
	v_fma_f32 v21, 0x3f3bfb3b, v35, -v21
	;; [unrolled: 1-line block ×4, first 2 shown]
	v_fmamk_f32 v34, v26, 0xbeae86e6, v31
	v_fmamk_f32 v35, v74, 0xbeae86e6, v39
	v_fma_f32 v28, 0xbf5ff5aa, v28, -v31
	v_fma_f32 v31, 0xbf5ff5aa, v22, -v39
	;; [unrolled: 1-line block ×4, first 2 shown]
	v_add_f32_e32 v48, v23, v27
	v_add_f32_e32 v49, v25, v29
	;; [unrolled: 1-line block ×6, first 2 shown]
	v_fmac_f32_e32 v34, 0xbee1c552, v24
	v_fmac_f32_e32 v35, 0xbee1c552, v30
	;; [unrolled: 1-line block ×6, first 2 shown]
	v_add_f32_e32 v16, v35, v48
	v_sub_f32_e32 v17, v49, v34
	v_add_f32_e32 v20, v26, v27
	v_sub_f32_e32 v21, v29, v39
	v_sub_f32_e32 v22, v25, v31
	v_add_f32_e32 v23, v28, v65
	v_add_f32_e32 v24, v31, v25
	v_sub_f32_e32 v25, v65, v28
	v_sub_f32_e32 v26, v27, v26
	v_add_f32_e32 v27, v39, v29
	v_sub_f32_e32 v28, v48, v35
	v_add_f32_e32 v29, v34, v49
	v_add_f32_e32 v30, v36, v44
	;; [unrolled: 1-line block ×3, first 2 shown]
	v_sub_f32_e32 v34, v36, v44
	v_sub_f32_e32 v35, v37, v38
	v_add_f32_e32 v36, v45, v64
	v_add_f32_e32 v37, v40, v66
	v_sub_f32_e32 v38, v45, v64
	v_sub_f32_e32 v39, v40, v66
	v_add_f32_e32 v40, v41, v50
	v_add_f32_e32 v44, v32, v33
	;; [unrolled: 4-line block ×3, first 2 shown]
	v_sub_f32_e32 v48, v36, v30
	v_sub_f32_e32 v49, v37, v31
	;; [unrolled: 1-line block ×6, first 2 shown]
	v_add_f32_e32 v50, v41, v38
	v_add_f32_e32 v64, v32, v39
	v_sub_f32_e32 v65, v41, v38
	v_sub_f32_e32 v66, v32, v39
	v_sub_f32_e32 v38, v38, v34
	v_add_f32_e32 v33, v40, v33
	v_add_f32_e32 v40, v44, v45
	v_sub_f32_e32 v39, v39, v35
	v_sub_f32_e32 v41, v34, v41
	;; [unrolled: 1-line block ×3, first 2 shown]
	v_add_f32_e32 v34, v50, v34
	v_add_f32_e32 v35, v64, v35
	v_add_f32_e32 v18, v18, v33
	v_add_f32_e32 v19, v19, v40
	v_mul_f32_e32 v30, 0x3f4a47b2, v30
	v_mul_f32_e32 v31, 0x3f4a47b2, v31
	;; [unrolled: 1-line block ×9, first 2 shown]
	v_fmamk_f32 v33, v33, 0xbf955555, v18
	v_fmamk_f32 v40, v40, 0xbf955555, v19
	;; [unrolled: 1-line block ×4, first 2 shown]
	v_fma_f32 v44, 0x3f3bfb3b, v48, -v44
	v_fma_f32 v45, 0x3f3bfb3b, v49, -v45
	v_fma_f32 v30, 0xbf3bfb3b, v48, -v30
	v_fma_f32 v31, 0xbf3bfb3b, v49, -v31
	v_fmamk_f32 v48, v41, 0xbeae86e6, v50
	v_fmamk_f32 v49, v32, 0xbeae86e6, v64
	v_fma_f32 v38, 0xbf5ff5aa, v38, -v50
	v_fma_f32 v39, 0xbf5ff5aa, v39, -v64
	;; [unrolled: 1-line block ×4, first 2 shown]
	v_fmac_f32_e32 v70, v98, v100
	v_add_f32_e32 v64, v36, v33
	v_add_f32_e32 v65, v37, v40
	;; [unrolled: 1-line block ×6, first 2 shown]
	v_fmac_f32_e32 v48, 0xbee1c552, v34
	v_fmac_f32_e32 v49, 0xbee1c552, v35
	;; [unrolled: 1-line block ×6, first 2 shown]
	v_add_f32_e32 v30, v49, v64
	v_sub_f32_e32 v31, v65, v48
	v_add_f32_e32 v32, v50, v44
	v_sub_f32_e32 v33, v40, v41
	v_sub_f32_e32 v34, v36, v39
	v_add_f32_e32 v35, v38, v37
	v_add_f32_e32 v36, v39, v36
	v_sub_f32_e32 v37, v37, v38
	v_sub_f32_e32 v38, v44, v50
	v_add_f32_e32 v39, v41, v40
	v_sub_f32_e32 v40, v64, v49
	v_add_f32_e32 v41, v48, v65
	v_add_f32_e32 v44, v47, v70
	;; [unrolled: 1-line block ×5, first 2 shown]
	v_sub_f32_e32 v47, v47, v70
	v_sub_f32_e32 v42, v42, v73
	;; [unrolled: 1-line block ×4, first 2 shown]
	v_add_f32_e32 v64, v46, v51
	v_add_f32_e32 v65, v68, v71
	v_sub_f32_e32 v46, v51, v46
	v_sub_f32_e32 v51, v71, v68
	v_add_f32_e32 v66, v48, v44
	v_add_f32_e32 v67, v49, v45
	v_sub_f32_e32 v68, v48, v44
	v_sub_f32_e32 v69, v49, v45
	v_sub_f32_e32 v44, v44, v64
	v_sub_f32_e32 v45, v45, v65
	v_sub_f32_e32 v48, v64, v48
	v_sub_f32_e32 v49, v65, v49
	v_add_f32_e32 v70, v46, v43
	v_add_f32_e32 v71, v51, v50
	v_sub_f32_e32 v72, v46, v43
	v_sub_f32_e32 v73, v51, v50
	;; [unrolled: 1-line block ×3, first 2 shown]
	v_add_f32_e32 v64, v64, v66
	v_add_f32_e32 v65, v65, v67
	v_sub_f32_e32 v50, v50, v42
	v_sub_f32_e32 v46, v47, v46
	;; [unrolled: 1-line block ×3, first 2 shown]
	v_add_f32_e32 v47, v70, v47
	v_add_f32_e32 v42, v71, v42
	;; [unrolled: 1-line block ×4, first 2 shown]
	v_mul_f32_e32 v44, 0x3f4a47b2, v44
	v_mul_f32_e32 v45, 0x3f4a47b2, v45
	;; [unrolled: 1-line block ×8, first 2 shown]
	v_fmamk_f32 v64, v64, 0xbf955555, v0
	v_fmamk_f32 v65, v65, 0xbf955555, v1
	;; [unrolled: 1-line block ×4, first 2 shown]
	v_fma_f32 v66, 0x3f3bfb3b, v68, -v66
	v_fma_f32 v67, 0x3f3bfb3b, v69, -v67
	;; [unrolled: 1-line block ×4, first 2 shown]
	v_fmamk_f32 v68, v46, 0xbeae86e6, v70
	v_fmamk_f32 v69, v51, 0xbeae86e6, v71
	v_fma_f32 v70, 0xbf5ff5aa, v43, -v70
	v_fma_f32 v50, 0xbf5ff5aa, v50, -v71
	;; [unrolled: 1-line block ×4, first 2 shown]
	v_add_f32_e32 v72, v48, v64
	v_add_f32_e32 v73, v49, v65
	v_add_f32_e32 v48, v66, v64
	v_add_f32_e32 v49, v67, v65
	v_add_f32_e32 v64, v44, v64
	v_add_f32_e32 v65, v45, v65
	v_fmac_f32_e32 v68, 0xbee1c552, v47
	v_fmac_f32_e32 v69, 0xbee1c552, v42
	;; [unrolled: 1-line block ×6, first 2 shown]
	v_add_f32_e32 v42, v69, v72
	v_sub_f32_e32 v43, v73, v68
	v_add_f32_e32 v44, v51, v64
	v_sub_f32_e32 v45, v65, v71
	v_sub_f32_e32 v46, v48, v50
	v_add_f32_e32 v47, v70, v49
	v_add_f32_e32 v48, v50, v48
	v_sub_f32_e32 v49, v49, v70
	v_sub_f32_e32 v50, v64, v51
	v_add_f32_e32 v51, v71, v65
	v_sub_f32_e32 v64, v72, v69
	v_add_f32_e32 v65, v68, v73
	s_barrier
	buffer_gl0_inv
	ds_write2_b64 v232, v[2:3], v[16:17] offset1:45
	ds_write2_b64 v232, v[20:21], v[22:23] offset0:90 offset1:135
	ds_write2_b64 v232, v[24:25], v[26:27] offset0:180 offset1:225
	ds_write_b64 v232, v[28:29] offset:2160
	ds_write2_b64 v233, v[18:19], v[30:31] offset1:45
	ds_write2_b64 v233, v[32:33], v[34:35] offset0:90 offset1:135
	ds_write2_b64 v233, v[36:37], v[38:39] offset0:180 offset1:225
	ds_write_b64 v233, v[40:41] offset:2160
	;; [unrolled: 4-line block ×3, first 2 shown]
	s_and_saveexec_b32 s1, s0
	s_cbranch_execz .LBB0_29
; %bb.28:
	v_mul_f32_e32 v3, v53, v7
	v_mul_f32_e32 v17, v55, v13
	v_mul_f32_e32 v1, v63, v224
	v_mul_f32_e32 v0, v59, v9
	v_mul_f32_e32 v19, v61, v11
	v_fmac_f32_e32 v3, v52, v6
	v_fmac_f32_e32 v17, v54, v12
	v_mul_f32_e32 v6, v53, v6
	v_fma_f32 v20, v62, v225, -v1
	v_mul_f32_e32 v1, v61, v10
	v_mul_f32_e32 v12, v55, v12
	v_fmac_f32_e32 v0, v58, v8
	v_fma_f32 v6, v52, v7, -v6
	v_mul_f32_e32 v7, v57, v14
	v_mul_f32_e32 v8, v59, v8
	v_fma_f32 v11, v60, v11, -v1
	v_fma_f32 v12, v54, v13, -v12
	v_fmac_f32_e32 v19, v60, v10
	v_fma_f32 v7, v56, v15, -v7
	v_fma_f32 v8, v58, v9, -v8
	v_add_f32_e32 v9, v20, v6
	v_add_f32_e32 v10, v11, v12
	v_mul_f32_e32 v2, v57, v15
	v_mul_f32_e32 v16, v63, v225
	v_add_f32_e32 v1, v7, v8
	v_sub_f32_e32 v13, v17, v19
	v_add_f32_e32 v15, v10, v9
	v_fmac_f32_e32 v2, v56, v14
	v_fmac_f32_e32 v16, v62, v224
	v_sub_f32_e32 v22, v9, v1
	v_sub_f32_e32 v24, v1, v10
	v_add_f32_e32 v15, v1, v15
	v_sub_f32_e32 v18, v0, v2
	v_add_f32_e32 v0, v2, v0
	v_mul_f32_e32 v22, 0x3f4a47b2, v22
	v_add_f32_e32 v2, v19, v17
	v_add_f32_e32 v1, v5, v15
	v_sub_f32_e32 v14, v3, v16
	v_sub_f32_e32 v7, v8, v7
	v_fmamk_f32 v5, v24, 0x3d64c772, v22
	v_sub_f32_e32 v8, v12, v11
	v_fmamk_f32 v15, v15, 0xbf955555, v1
	v_sub_f32_e32 v11, v0, v2
	v_sub_f32_e32 v6, v6, v20
	v_sub_f32_e32 v21, v18, v13
	v_sub_f32_e32 v23, v14, v18
	v_add_f32_e32 v26, v5, v15
	v_add_f32_e32 v5, v16, v3
	;; [unrolled: 1-line block ×3, first 2 shown]
	v_mul_f32_e32 v20, 0x3d64c772, v11
	v_sub_f32_e32 v13, v13, v14
	v_mul_f32_e32 v21, 0x3f08b237, v21
	v_sub_f32_e32 v17, v5, v0
	v_add_f32_e32 v19, v2, v5
	v_sub_f32_e32 v2, v2, v5
	v_add_f32_e32 v18, v18, v14
	v_sub_f32_e32 v9, v10, v9
	v_mul_f32_e32 v12, 0x3f4a47b2, v17
	v_add_f32_e32 v17, v0, v19
	v_sub_f32_e32 v19, v7, v8
	v_fmamk_f32 v25, v23, 0xbeae86e6, v21
	v_mul_f32_e32 v16, 0x3d64c772, v24
	v_fmamk_f32 v11, v11, 0x3d64c772, v12
	v_add_f32_e32 v0, v4, v17
	v_sub_f32_e32 v4, v6, v7
	v_add_f32_e32 v7, v7, v8
	v_mul_f32_e32 v14, 0x3f08b237, v19
	v_mul_f32_e32 v19, 0xbf5ff5aa, v13
	v_fmamk_f32 v10, v17, 0xbf955555, v0
	v_sub_f32_e32 v8, v8, v6
	v_add_f32_e32 v6, v7, v6
	v_fma_f32 v7, 0xbf3bfb3b, v2, -v12
	v_fma_f32 v2, 0x3f3bfb3b, v2, -v20
	;; [unrolled: 1-line block ×3, first 2 shown]
	v_add_f32_e32 v23, v11, v10
	v_mul_f32_e32 v12, 0xbf5ff5aa, v8
	v_add_f32_e32 v24, v7, v10
	v_add_f32_e32 v2, v2, v10
	buffer_load_dword v10, off, s[16:19], 0 offset:284 ; 4-byte Folded Reload
	v_fmamk_f32 v17, v4, 0xbeae86e6, v14
	v_fma_f32 v12, 0x3eae86e6, v4, -v12
	v_fma_f32 v14, 0xbf5ff5aa, v8, -v14
	;; [unrolled: 1-line block ×4, first 2 shown]
	v_fmac_f32_e32 v17, 0xbee1c552, v6
	v_fmac_f32_e32 v12, 0xbee1c552, v6
	;; [unrolled: 1-line block ×3, first 2 shown]
	v_mov_b32_e32 v6, 3
	v_fma_f32 v9, 0xbf5ff5aa, v13, -v21
	v_fmac_f32_e32 v25, 0xbee1c552, v18
	v_add_f32_e32 v22, v22, v15
	v_add_f32_e32 v8, v4, v15
	v_fmac_f32_e32 v19, 0xbee1c552, v18
	v_fmac_f32_e32 v9, 0xbee1c552, v18
	v_sub_f32_e32 v4, v24, v12
	v_sub_f32_e32 v13, v26, v25
	v_add_f32_e32 v3, v25, v26
	v_sub_f32_e32 v11, v22, v19
	v_sub_f32_e32 v7, v8, v9
	v_add_f32_e32 v9, v9, v8
	v_sub_f32_e32 v8, v2, v14
	v_add_f32_e32 v5, v19, v22
	s_waitcnt vmcnt(0)
	v_lshlrev_b32_sdwa v15, v6, v10 dst_sel:DWORD dst_unused:UNUSED_PAD src0_sel:DWORD src1_sel:BYTE_0
	v_add_f32_e32 v10, v12, v24
	v_add_f32_e32 v12, v17, v23
	;; [unrolled: 1-line block ×3, first 2 shown]
	v_sub_f32_e32 v2, v23, v17
	v_add_nc_u32_e32 v16, 0x2400, v15
	v_add_nc_u32_e32 v18, 0x2800, v15
	ds_write2_b64 v16, v[0:1], v[12:13] offset0:108 offset1:153
	ds_write2_b64 v18, v[10:11], v[8:9] offset0:70 offset1:115
	;; [unrolled: 1-line block ×3, first 2 shown]
	ds_write_b64 v15, v[2:3] offset:12240
.LBB0_29:
	s_or_b32 exec_lo, exec_lo, s1
	v_add_nc_u32_e32 v21, 0x400, v255
	s_waitcnt lgkmcnt(0)
	s_barrier
	buffer_gl0_inv
	v_add_nc_u32_e32 v18, 0x1800, v255
	ds_read2_b64 v[0:3], v21 offset0:124 offset1:187
	v_add_nc_u32_e32 v22, 0x1000, v255
	v_add_nc_u32_e32 v16, 0x2400, v255
	ds_read2_b64 v[4:7], v255 offset1:63
	ds_read2_b64 v[12:15], v22 offset0:118 offset1:181
	ds_read2_b64 v[30:33], v18 offset0:114 offset1:177
	v_add_nc_u32_e32 v20, 0x800, v255
	v_add_nc_u32_e32 v25, 0x1c00, v255
	;; [unrolled: 1-line block ×3, first 2 shown]
	ds_read2_b64 v[8:11], v255 offset0:126 offset1:189
	v_add_nc_u32_e32 v19, 0x2800, v255
	v_add_nc_u32_e32 v24, 0xc00, v255
	ds_read2_b64 v[26:29], v16 offset0:108 offset1:171
	ds_read_b64 v[16:17], v255 offset:12096
	ds_read2_b64 v[34:37], v20 offset0:122 offset1:185
	ds_read2_b64 v[38:41], v25 offset0:112 offset1:175
	;; [unrolled: 1-line block ×5, first 2 shown]
	v_add_nc_u32_e32 v23, 0x2000, v255
	s_mov_b32 s2, 0xae67b348
	s_mov_b32 s3, 0x3f44ce19
	s_mul_hi_u32 s1, s8, 0x20d
	ds_read2_b64 v[54:57], v23 offset0:110 offset1:173
	s_waitcnt lgkmcnt(12)
	v_mul_f32_e32 v58, v129, v3
	v_mul_f32_e32 v59, v129, v2
	s_waitcnt lgkmcnt(10)
	v_mul_f32_e32 v60, v131, v13
	v_fmac_f32_e32 v58, v128, v2
	s_waitcnt lgkmcnt(9)
	v_mul_f32_e32 v2, v125, v32
	v_fma_f32 v59, v128, v3, -v59
	s_waitcnt lgkmcnt(5)
	v_mul_f32_e32 v3, v145, v34
	v_mul_f32_e32 v62, v125, v33
	;; [unrolled: 1-line block ×3, first 2 shown]
	v_fma_f32 v33, v124, v33, -v2
	v_mul_f32_e32 v2, v127, v26
	v_fma_f32 v66, v144, v35, -v3
	s_waitcnt lgkmcnt(4)
	v_mul_f32_e32 v3, v141, v38
	v_fmac_f32_e32 v60, v130, v12
	v_mul_f32_e32 v12, v143, v28
	v_fma_f32 v65, v126, v27, -v2
	v_mul_f32_e32 v2, v147, v14
	v_fma_f32 v70, v140, v39, -v3
	s_waitcnt lgkmcnt(3)
	v_mul_f32_e32 v3, v139, v42
	v_fma_f32 v71, v142, v29, -v12
	s_waitcnt lgkmcnt(1)
	v_mul_f32_e32 v12, v157, v50
	v_fma_f32 v69, v146, v15, -v2
	v_mul_f32_e32 v2, v137, v36
	v_fma_f32 v76, v138, v43, -v3
	v_mul_f32_e32 v3, v135, v46
	v_fma_f32 v61, v130, v13, -v61
	v_mul_f32_e32 v13, v127, v27
	v_fma_f32 v75, v136, v37, -v2
	v_mul_f32_e32 v2, v133, v40
	v_fma_f32 v80, v134, v47, -v3
	s_waitcnt lgkmcnt(0)
	v_mul_f32_e32 v3, v153, v54
	v_mul_f32_e32 v68, v143, v29
	v_fma_f32 v81, v156, v51, -v12
	v_fma_f32 v79, v132, v41, -v2
	v_mul_f32_e32 v2, v159, v44
	v_fma_f32 v86, v152, v55, -v3
	v_mul_f32_e32 v3, v161, v52
	v_mul_f32_e32 v12, v163, v30
	v_fmac_f32_e32 v62, v124, v32
	v_fmac_f32_e32 v13, v126, v26
	;; [unrolled: 1-line block ×3, first 2 shown]
	v_fma_f32 v85, v158, v45, -v2
	v_mul_f32_e32 v2, v155, v48
	v_mul_f32_e32 v28, v163, v31
	v_fma_f32 v26, v160, v53, -v3
	v_fma_f32 v27, v162, v31, -v12
	v_mul_f32_e32 v3, v149, v56
	v_add_f32_e32 v12, v4, v58
	v_mul_f32_e32 v64, v147, v15
	v_fma_f32 v87, v154, v49, -v2
	v_fmac_f32_e32 v28, v162, v30
	v_add_f32_e32 v2, v60, v62
	v_mul_f32_e32 v88, v151, v17
	v_fma_f32 v30, v148, v57, -v3
	v_add_f32_e32 v3, v12, v60
	v_mul_f32_e32 v63, v145, v35
	v_fmac_f32_e32 v64, v146, v14
	v_mul_f32_e32 v72, v137, v37
	v_fma_f32 v2, -0.5, v2, v4
	v_sub_f32_e32 v15, v59, v65
	v_fmac_f32_e32 v88, v150, v16
	v_sub_f32_e32 v14, v58, v60
	v_sub_f32_e32 v32, v13, v62
	v_add_f32_e32 v35, v58, v13
	v_mul_f32_e32 v16, v151, v16
	v_add_f32_e32 v3, v3, v62
	v_fmac_f32_e32 v63, v144, v34
	v_fmac_f32_e32 v72, v136, v36
	v_fmamk_f32 v12, v15, 0xbf737871, v2
	v_sub_f32_e32 v34, v61, v33
	v_add_f32_e32 v36, v14, v32
	v_fma_f32 v14, -0.5, v35, v4
	v_fma_f32 v32, v150, v17, -v16
	v_add_f32_e32 v4, v3, v13
	v_fmac_f32_e32 v2, 0x3f737871, v15
	v_sub_f32_e32 v3, v60, v58
	v_sub_f32_e32 v17, v62, v13
	v_add_f32_e32 v35, v5, v59
	v_add_f32_e32 v37, v61, v33
	v_mul_f32_e32 v67, v141, v39
	v_fmac_f32_e32 v12, 0xbf167918, v34
	v_fmamk_f32 v16, v34, 0x3f737871, v14
	v_fmac_f32_e32 v2, 0x3f167918, v34
	v_add_f32_e32 v17, v3, v17
	v_fmac_f32_e32 v14, 0xbf737871, v34
	v_add_f32_e32 v34, v35, v61
	v_fma_f32 v3, -0.5, v37, v5
	v_sub_f32_e32 v37, v58, v13
	v_fmac_f32_e32 v67, v140, v38
	v_fmac_f32_e32 v12, 0x3e9e377a, v36
	;; [unrolled: 1-line block ×5, first 2 shown]
	v_add_f32_e32 v34, v34, v33
	v_fmamk_f32 v13, v37, 0x3f737871, v3
	v_add_f32_e32 v15, v59, v65
	v_sub_f32_e32 v35, v60, v62
	v_sub_f32_e32 v36, v59, v61
	;; [unrolled: 1-line block ×3, first 2 shown]
	v_fmac_f32_e32 v3, 0xbf737871, v37
	v_fma_f32 v15, -0.5, v15, v5
	v_add_f32_e32 v5, v34, v65
	v_fmac_f32_e32 v13, 0x3f167918, v35
	v_add_f32_e32 v34, v36, v38
	v_fmac_f32_e32 v3, 0xbf167918, v35
	v_add_f32_e32 v39, v6, v63
	v_mul_f32_e32 v73, v139, v43
	v_fmac_f32_e32 v16, 0x3e9e377a, v17
	v_fmac_f32_e32 v14, 0x3e9e377a, v17
	v_fmamk_f32 v17, v35, 0xbf737871, v15
	v_sub_f32_e32 v36, v61, v59
	v_sub_f32_e32 v33, v33, v65
	v_fmac_f32_e32 v13, 0x3e9e377a, v34
	v_add_f32_e32 v38, v64, v67
	v_fmac_f32_e32 v3, 0x3e9e377a, v34
	v_fmac_f32_e32 v15, 0x3f737871, v35
	v_add_f32_e32 v34, v39, v64
	v_mul_f32_e32 v74, v133, v41
	v_fmac_f32_e32 v73, v138, v42
	v_fmac_f32_e32 v17, 0x3f167918, v37
	v_add_f32_e32 v36, v36, v33
	v_fma_f32 v33, -0.5, v38, v6
	v_sub_f32_e32 v38, v66, v71
	v_add_f32_e32 v42, v63, v68
	v_fmac_f32_e32 v15, 0xbf167918, v37
	v_add_f32_e32 v34, v34, v67
	v_fmac_f32_e32 v74, v132, v40
	v_mul_f32_e32 v82, v159, v45
	v_fmac_f32_e32 v17, 0x3e9e377a, v36
	v_fmamk_f32 v35, v38, 0xbf737871, v33
	v_sub_f32_e32 v40, v69, v70
	v_sub_f32_e32 v39, v63, v64
	;; [unrolled: 1-line block ×3, first 2 shown]
	v_fma_f32 v6, -0.5, v42, v6
	v_fmac_f32_e32 v15, 0x3e9e377a, v36
	v_add_f32_e32 v37, v34, v68
	v_fmac_f32_e32 v33, 0x3f737871, v38
	v_sub_f32_e32 v34, v64, v63
	v_sub_f32_e32 v36, v67, v68
	v_add_f32_e32 v42, v7, v66
	v_add_f32_e32 v43, v69, v70
	v_fmac_f32_e32 v82, v158, v44
	v_fmac_f32_e32 v35, 0xbf167918, v40
	v_add_f32_e32 v41, v39, v41
	v_fmamk_f32 v39, v40, 0x3f737871, v6
	v_fmac_f32_e32 v33, 0x3f167918, v40
	v_add_f32_e32 v44, v34, v36
	v_fmac_f32_e32 v6, 0xbf737871, v40
	v_add_f32_e32 v36, v42, v69
	v_fma_f32 v34, -0.5, v43, v7
	v_sub_f32_e32 v42, v63, v68
	v_fmac_f32_e32 v35, 0x3e9e377a, v41
	v_fmac_f32_e32 v39, 0xbf167918, v38
	;; [unrolled: 1-line block ×4, first 2 shown]
	v_add_f32_e32 v38, v36, v70
	v_fmamk_f32 v36, v42, 0x3f737871, v34
	v_add_f32_e32 v40, v66, v71
	v_sub_f32_e32 v43, v64, v67
	v_sub_f32_e32 v41, v66, v69
	v_sub_f32_e32 v45, v71, v70
	v_fmac_f32_e32 v34, 0xbf737871, v42
	v_mul_f32_e32 v77, v135, v47
	v_fmac_f32_e32 v39, 0x3e9e377a, v44
	v_fmac_f32_e32 v6, 0x3e9e377a, v44
	v_fmac_f32_e32 v7, -0.5, v40
	v_fmac_f32_e32 v36, 0x3f167918, v43
	v_add_f32_e32 v44, v41, v45
	v_fmac_f32_e32 v34, 0xbf167918, v43
	v_add_f32_e32 v47, v8, v72
	v_mul_f32_e32 v78, v157, v51
	v_fmac_f32_e32 v77, v134, v46
	v_fmamk_f32 v40, v43, 0xbf737871, v7
	v_sub_f32_e32 v41, v69, v66
	v_sub_f32_e32 v45, v70, v71
	v_fmac_f32_e32 v36, 0x3e9e377a, v44
	v_add_f32_e32 v46, v73, v74
	v_fmac_f32_e32 v34, 0x3e9e377a, v44
	v_fmac_f32_e32 v7, 0x3f737871, v43
	v_add_f32_e32 v44, v47, v73
	v_fmac_f32_e32 v78, v156, v50
	v_mul_f32_e32 v84, v155, v49
	v_fmac_f32_e32 v40, 0x3f167918, v42
	v_add_f32_e32 v45, v41, v45
	v_fma_f32 v41, -0.5, v46, v8
	v_sub_f32_e32 v46, v75, v80
	v_sub_f32_e32 v47, v72, v73
	;; [unrolled: 1-line block ×3, first 2 shown]
	v_add_f32_e32 v50, v72, v77
	v_fmac_f32_e32 v7, 0xbf167918, v42
	v_add_f32_e32 v42, v44, v74
	v_fmac_f32_e32 v84, v154, v48
	v_fmac_f32_e32 v40, 0x3e9e377a, v45
	v_fmamk_f32 v43, v46, 0xbf737871, v41
	v_sub_f32_e32 v48, v76, v79
	v_add_f32_e32 v44, v47, v49
	v_fma_f32 v8, -0.5, v50, v8
	v_fmac_f32_e32 v7, 0x3e9e377a, v45
	v_add_f32_e32 v45, v42, v77
	v_fmac_f32_e32 v41, 0x3f737871, v46
	v_sub_f32_e32 v42, v73, v72
	v_sub_f32_e32 v49, v74, v77
	v_add_f32_e32 v50, v9, v75
	v_add_f32_e32 v51, v76, v79
	v_mul_f32_e32 v83, v153, v55
	v_mul_f32_e32 v29, v161, v53
	v_fmac_f32_e32 v43, 0xbf167918, v48
	v_fmamk_f32 v47, v48, 0x3f737871, v8
	v_fmac_f32_e32 v41, 0x3f167918, v48
	v_add_f32_e32 v49, v42, v49
	v_fmac_f32_e32 v8, 0xbf737871, v48
	v_add_f32_e32 v48, v50, v76
	v_fma_f32 v42, -0.5, v51, v9
	v_sub_f32_e32 v50, v72, v77
	v_fmac_f32_e32 v83, v152, v54
	v_fmac_f32_e32 v29, v160, v52
	;; [unrolled: 1-line block ×6, first 2 shown]
	v_add_f32_e32 v46, v48, v79
	v_fmamk_f32 v44, v50, 0x3f737871, v42
	v_add_f32_e32 v48, v75, v80
	v_sub_f32_e32 v51, v73, v74
	v_sub_f32_e32 v52, v75, v76
	;; [unrolled: 1-line block ×3, first 2 shown]
	v_fmac_f32_e32 v42, 0xbf737871, v50
	v_fmac_f32_e32 v47, 0x3e9e377a, v49
	;; [unrolled: 1-line block ×3, first 2 shown]
	v_fma_f32 v9, -0.5, v48, v9
	v_fmac_f32_e32 v44, 0x3f167918, v51
	v_add_f32_e32 v52, v52, v53
	v_sub_f32_e32 v49, v76, v75
	v_sub_f32_e32 v53, v79, v80
	v_add_f32_e32 v54, v82, v83
	v_fmac_f32_e32 v42, 0xbf167918, v51
	v_add_f32_e32 v55, v10, v78
	v_mul_f32_e32 v31, v149, v57
	v_fmamk_f32 v48, v51, 0xbf737871, v9
	v_fmac_f32_e32 v44, 0x3e9e377a, v52
	v_add_f32_e32 v53, v49, v53
	v_fma_f32 v49, -0.5, v54, v10
	v_sub_f32_e32 v54, v81, v87
	v_fmac_f32_e32 v42, 0x3e9e377a, v52
	v_fmac_f32_e32 v9, 0x3f737871, v51
	v_add_f32_e32 v52, v55, v82
	v_add_f32_e32 v58, v78, v84
	v_fmac_f32_e32 v31, v148, v56
	v_fmac_f32_e32 v48, 0x3f167918, v50
	v_fmamk_f32 v51, v54, 0xbf737871, v49
	v_sub_f32_e32 v56, v85, v86
	v_sub_f32_e32 v55, v78, v82
	;; [unrolled: 1-line block ×3, first 2 shown]
	v_fmac_f32_e32 v9, 0xbf167918, v50
	v_add_f32_e32 v50, v52, v83
	v_fma_f32 v10, -0.5, v58, v10
	v_fmac_f32_e32 v49, 0x3f737871, v54
	v_add_f32_e32 v58, v11, v81
	v_fmac_f32_e32 v48, 0x3e9e377a, v53
	v_fmac_f32_e32 v51, 0xbf167918, v56
	v_add_f32_e32 v52, v55, v57
	v_fmac_f32_e32 v9, 0x3e9e377a, v53
	v_add_f32_e32 v53, v50, v84
	v_fmamk_f32 v55, v56, 0x3f737871, v10
	v_sub_f32_e32 v50, v82, v78
	v_sub_f32_e32 v57, v83, v84
	v_fmac_f32_e32 v49, 0x3f167918, v56
	v_add_f32_e32 v59, v85, v86
	v_fmac_f32_e32 v10, 0xbf737871, v56
	v_add_f32_e32 v56, v58, v85
	;; [unrolled: 2-line block ×3, first 2 shown]
	v_fma_f32 v50, -0.5, v59, v11
	v_sub_f32_e32 v58, v78, v84
	v_fmac_f32_e32 v10, 0x3f167918, v54
	v_add_f32_e32 v54, v56, v86
	v_add_f32_e32 v56, v81, v87
	v_sub_f32_e32 v60, v81, v85
	v_sub_f32_e32 v61, v87, v86
	v_fmac_f32_e32 v51, 0x3e9e377a, v52
	v_fmac_f32_e32 v49, 0x3e9e377a, v52
	;; [unrolled: 1-line block ×3, first 2 shown]
	v_fmamk_f32 v52, v58, 0x3f737871, v50
	v_sub_f32_e32 v59, v82, v83
	v_fmac_f32_e32 v10, 0x3e9e377a, v57
	v_fmac_f32_e32 v11, -0.5, v56
	v_add_f32_e32 v60, v60, v61
	v_fmac_f32_e32 v50, 0xbf737871, v58
	v_sub_f32_e32 v57, v85, v81
	v_sub_f32_e32 v61, v86, v87
	v_add_f32_e32 v62, v28, v31
	v_fmac_f32_e32 v52, 0x3f167918, v59
	v_fmamk_f32 v56, v59, 0xbf737871, v11
	v_fmac_f32_e32 v50, 0xbf167918, v59
	v_add_f32_e32 v61, v57, v61
	v_fmac_f32_e32 v11, 0x3f737871, v59
	v_add_f32_e32 v59, v0, v29
	v_fma_f32 v57, -0.5, v62, v0
	v_sub_f32_e32 v62, v26, v32
	v_fmac_f32_e32 v52, 0x3e9e377a, v60
	v_fmac_f32_e32 v56, 0x3f167918, v58
	;; [unrolled: 1-line block ×4, first 2 shown]
	v_add_f32_e32 v58, v59, v28
	v_fmamk_f32 v59, v62, 0xbf737871, v57
	v_sub_f32_e32 v60, v27, v30
	v_sub_f32_e32 v63, v29, v28
	;; [unrolled: 1-line block ×3, first 2 shown]
	v_fmac_f32_e32 v57, 0x3f737871, v62
	v_add_f32_e32 v65, v29, v88
	v_add_f32_e32 v58, v58, v31
	v_fmac_f32_e32 v59, 0xbf167918, v60
	v_add_f32_e32 v63, v63, v64
	v_fmac_f32_e32 v57, 0x3f167918, v60
	v_fma_f32 v0, -0.5, v65, v0
	v_sub_f32_e32 v64, v28, v29
	v_sub_f32_e32 v65, v31, v88
	v_fmac_f32_e32 v56, 0x3e9e377a, v61
	v_fmac_f32_e32 v11, 0x3e9e377a, v61
	v_add_f32_e32 v61, v58, v88
	v_fmac_f32_e32 v59, 0x3e9e377a, v63
	v_fmac_f32_e32 v57, 0x3e9e377a, v63
	v_fmamk_f32 v63, v60, 0x3f737871, v0
	v_add_f32_e32 v58, v27, v30
	v_fmac_f32_e32 v0, 0xbf737871, v60
	v_add_f32_e32 v60, v1, v26
	v_add_f32_e32 v64, v64, v65
	;; [unrolled: 1-line block ×3, first 2 shown]
	v_fma_f32 v58, -0.5, v58, v1
	v_fmac_f32_e32 v63, 0xbf167918, v62
	v_fmac_f32_e32 v0, 0x3f167918, v62
	v_add_f32_e32 v62, v60, v27
	v_sub_f32_e32 v28, v28, v31
	v_fmac_f32_e32 v1, -0.5, v65
	v_sub_f32_e32 v29, v29, v88
	v_fmac_f32_e32 v63, 0x3e9e377a, v64
	v_fmac_f32_e32 v0, 0x3e9e377a, v64
	v_add_f32_e32 v31, v62, v30
	v_sub_f32_e32 v62, v26, v27
	v_fmamk_f32 v64, v28, 0xbf737871, v1
	v_sub_f32_e32 v26, v27, v26
	v_sub_f32_e32 v27, v30, v32
	v_fmac_f32_e32 v1, 0x3f737871, v28
	v_fmamk_f32 v60, v29, 0x3f737871, v58
	v_sub_f32_e32 v65, v32, v30
	v_fmac_f32_e32 v58, 0xbf737871, v29
	v_add_f32_e32 v26, v26, v27
	v_fmac_f32_e32 v1, 0xbf167918, v29
	v_fmac_f32_e32 v60, 0x3f167918, v28
	v_add_f32_e32 v30, v62, v65
	v_fmac_f32_e32 v58, 0xbf167918, v28
	;; [unrolled: 3-line block ×3, first 2 shown]
	v_add_f32_e32 v46, v46, v80
	v_add_f32_e32 v54, v54, v87
	v_add_f32_e32 v62, v31, v32
	v_fmac_f32_e32 v60, 0x3e9e377a, v30
	v_fmac_f32_e32 v58, 0x3e9e377a, v30
	;; [unrolled: 1-line block ×3, first 2 shown]
	ds_write_b64 v255, v[12:13] offset:2520
	ds_write_b64 v255, v[16:17] offset:5040
	;; [unrolled: 1-line block ×4, first 2 shown]
	ds_write2_b64 v255, v[4:5], v[37:38] offset1:63
	ds_write2_b64 v20, v[35:36], v[43:44] offset0:122 offset1:185
	ds_write2_b64 v22, v[39:40], v[47:48] offset0:181 offset1:244
	;; [unrolled: 1-line block ×5, first 2 shown]
	ds_write_b64 v255, v[55:56] offset:6552
	ds_write_b64 v255, v[10:11] offset:9072
	;; [unrolled: 1-line block ×4, first 2 shown]
	ds_write2_b64 v24, v[51:52], v[59:60] offset0:120 offset1:183
	ds_write_b64 v255, v[63:64] offset:7056
	ds_write_b64 v255, v[0:1] offset:9576
	;; [unrolled: 1-line block ×3, first 2 shown]
	s_waitcnt lgkmcnt(0)
	s_barrier
	buffer_gl0_inv
	ds_read2_b64 v[0:3], v255 offset1:63
	s_clause 0x1
	buffer_load_dword v10, off, s[16:19], 0 offset:152
	buffer_load_dword v11, off, s[16:19], 0 offset:156
	ds_read2_b64 v[4:7], v22 offset0:13 offset1:76
	v_mad_u64_u32 v[12:13], null, s10, v217, 0
	s_waitcnt vmcnt(0) lgkmcnt(1)
	v_mul_f32_e32 v8, v11, v1
	v_fmac_f32_e32 v8, v10, v0
	v_mul_f32_e32 v0, v11, v0
	v_cvt_f64_f32_e32 v[8:9], v8
	v_fma_f32 v0, v10, v1, -v0
	s_waitcnt lgkmcnt(0)
	v_mul_f32_e32 v10, v221, v5
	v_cvt_f64_f32_e32 v[0:1], v0
	v_fmac_f32_e32 v10, v220, v4
	v_mul_f32_e32 v4, v221, v4
	v_cvt_f64_f32_e32 v[16:17], v10
	v_fma_f32 v24, v220, v5, -v4
	v_mad_u64_u32 v[4:5], null, s8, v244, 0
	v_cvt_f64_f32_e32 v[24:25], v24
	v_mul_f64 v[14:15], v[8:9], s[2:3]
	ds_read2_b64 v[8:11], v23 offset0:26 offset1:89
	s_clause 0x1
	buffer_load_dword v32, off, s[16:19], 0 offset:112
	buffer_load_dword v33, off, s[16:19], 0 offset:116
	v_mul_f64 v[0:1], v[0:1], s[2:3]
	s_waitcnt lgkmcnt(0)
	v_mul_f32_e32 v29, v219, v8
	v_mad_u64_u32 v[26:27], null, s11, v217, v[13:14]
	v_mad_u64_u32 v[27:28], null, s9, v244, v[5:6]
	v_mul_f32_e32 v28, v219, v9
	v_mov_b32_e32 v13, v26
	v_cvt_f32_f64_e32 v26, v[14:15]
	v_mul_f64 v[14:15], v[16:17], s[2:3]
	v_mov_b32_e32 v5, v27
	v_fmac_f32_e32 v28, v218, v8
	v_fma_f32 v27, v218, v9, -v29
	v_lshlrev_b64 v[8:9], 3, v[12:13]
	v_mul_f64 v[16:17], v[24:25], s[2:3]
	v_lshlrev_b64 v[4:5], 3, v[4:5]
	v_cvt_f64_f32_e32 v[24:25], v28
	v_cvt_f64_f32_e32 v[28:29], v27
	v_cvt_f32_f64_e32 v27, v[0:1]
	v_add_co_u32 v8, s0, s6, v8
	v_add_co_ci_u32_e64 v9, s0, s7, v9, s0
	v_add_co_u32 v4, s0, v8, v4
	v_add_co_ci_u32_e64 v5, s0, v9, v5, s0
	s_mul_i32 s0, s9, 0x20d
	s_add_i32 s1, s1, s0
	v_cvt_f32_f64_e32 v8, v[14:15]
	ds_read2_b64 v[12:15], v255 offset0:126 offset1:189
	s_clause 0x1
	buffer_load_dword v34, off, s[16:19], 0 offset:176
	buffer_load_dword v35, off, s[16:19], 0 offset:180
	s_mul_i32 s0, s8, 0x20d
	v_cvt_f32_f64_e32 v9, v[16:17]
	s_lshl_b64 s[4:5], s[0:1], 3
	v_mul_f64 v[16:17], v[24:25], s[2:3]
	v_mul_f64 v[24:25], v[28:29], s[2:3]
	s_mul_hi_u32 s1, s8, 0xfffffc25
	s_sub_i32 s1, s1, s8
	v_cvt_f32_f64_e32 v16, v[16:17]
	v_cvt_f32_f64_e32 v17, v[24:25]
	s_waitcnt vmcnt(2)
	v_mul_f32_e32 v30, v33, v3
	v_mul_f32_e32 v0, v33, v2
	v_fmac_f32_e32 v30, v32, v2
	v_fma_f32 v0, v32, v3, -v0
	v_cvt_f64_f32_e32 v[30:31], v30
	v_mul_f64 v[28:29], v[30:31], s[2:3]
	v_cvt_f64_f32_e32 v[30:31], v0
	s_waitcnt vmcnt(0)
	v_mul_f32_e32 v1, v35, v7
	v_mul_f32_e32 v2, v35, v6
	s_clause 0x3
	buffer_load_dword v35, off, s[16:19], 0 offset:184
	buffer_load_dword v36, off, s[16:19], 0 offset:188
	;; [unrolled: 1-line block ×4, first 2 shown]
	v_fmac_f32_e32 v1, v34, v6
	v_fma_f32 v0, v34, v7, -v2
	v_cvt_f64_f32_e32 v[32:33], v1
	v_mul_f64 v[24:25], v[32:33], s[2:3]
	v_cvt_f32_f64_e32 v24, v[24:25]
	s_waitcnt vmcnt(2)
	v_mul_f32_e32 v3, v36, v11
	s_waitcnt vmcnt(0) lgkmcnt(0)
	v_mul_f32_e32 v2, v38, v13
	v_mul_f32_e32 v6, v36, v10
	;; [unrolled: 1-line block ×3, first 2 shown]
	v_fmac_f32_e32 v3, v35, v10
	v_fmac_f32_e32 v2, v37, v12
	v_add_co_u32 v12, s0, v4, s4
	v_fma_f32 v1, v35, v11, -v6
	v_fma_f32 v38, v37, v13, -v36
	v_add_co_ci_u32_e64 v13, s0, s5, v5, s0
	v_cvt_f64_f32_e32 v[6:7], v0
	v_cvt_f64_f32_e32 v[10:11], v3
	;; [unrolled: 1-line block ×4, first 2 shown]
	ds_read2_b64 v[0:3], v22 offset0:139 offset1:202
	global_store_dwordx2 v[4:5], v[26:27], off
	global_store_dwordx2 v[12:13], v[8:9], off
	s_clause 0x1
	buffer_load_dword v40, off, s[16:19], 0 offset:160
	buffer_load_dword v41, off, s[16:19], 0 offset:164
	v_cvt_f64_f32_e32 v[38:39], v38
	v_cvt_f32_f64_e32 v22, v[28:29]
	v_mul_f64 v[8:9], v[30:31], s[2:3]
	v_add_co_u32 v12, s0, v12, s4
	v_add_co_ci_u32_e64 v13, s0, s5, v13, s0
	s_mul_i32 s0, s9, 0xfffffc25
	s_add_i32 s1, s1, s0
	s_mul_i32 s0, s8, 0xfffffc25
	s_lshl_b64 s[6:7], s[0:1], 3
	v_mul_f64 v[26:27], v[6:7], s[2:3]
	ds_read2_b64 v[4:7], v23 offset0:152 offset1:215
	v_mul_f64 v[28:29], v[34:35], s[2:3]
	v_mul_f64 v[10:11], v[10:11], s[2:3]
	v_mul_f64 v[30:31], v[36:37], s[2:3]
	v_mul_f64 v[32:33], v[38:39], s[2:3]
	s_clause 0x1
	buffer_load_dword v38, off, s[16:19], 0 offset:168
	buffer_load_dword v39, off, s[16:19], 0 offset:172
	v_cvt_f32_f64_e32 v23, v[8:9]
	v_cvt_f32_f64_e32 v25, v[26:27]
	;; [unrolled: 1-line block ×6, first 2 shown]
	s_waitcnt vmcnt(2) lgkmcnt(1)
	v_mul_f32_e32 v34, v41, v1
	v_mul_f32_e32 v35, v41, v0
	v_fmac_f32_e32 v34, v40, v0
	v_fma_f32 v35, v40, v1, -v35
	s_clause 0x1
	buffer_load_dword v40, off, s[16:19], 0 offset:96
	buffer_load_dword v41, off, s[16:19], 0 offset:100
	v_cvt_f64_f32_e32 v[0:1], v34
	v_add_co_u32 v34, s0, v12, s6
	v_cvt_f64_f32_e32 v[8:9], v35
	v_add_co_ci_u32_e64 v35, s0, s7, v13, s0
	v_add_co_u32 v26, s0, v34, s4
	v_add_co_ci_u32_e64 v27, s0, s5, v35, s0
	s_waitcnt vmcnt(2) lgkmcnt(0)
	v_mul_f32_e32 v36, v39, v5
	v_mul_f32_e32 v37, v39, v4
	v_fmac_f32_e32 v36, v38, v4
	v_fma_f32 v4, v38, v5, -v37
	v_mul_f64 v[30:31], v[0:1], s[2:3]
	v_cvt_f64_f32_e32 v[32:33], v36
	v_cvt_f64_f32_e32 v[36:37], v4
	v_mul_f64 v[8:9], v[8:9], s[2:3]
	s_waitcnt vmcnt(0)
	v_mul_f32_e32 v5, v41, v15
	v_mul_f32_e32 v0, v41, v14
	s_clause 0x3
	buffer_load_dword v41, off, s[16:19], 0 offset:136
	buffer_load_dword v42, off, s[16:19], 0 offset:140
	;; [unrolled: 1-line block ×4, first 2 shown]
	v_fmac_f32_e32 v5, v40, v14
	v_fma_f32 v0, v40, v15, -v0
	v_cvt_f64_f32_e32 v[38:39], v5
	v_cvt_f64_f32_e32 v[14:15], v0
	v_mul_f64 v[14:15], v[14:15], s[2:3]
	s_waitcnt vmcnt(2)
	v_mul_f32_e32 v1, v42, v3
	v_mul_f32_e32 v4, v42, v2
	s_waitcnt vmcnt(0)
	v_mul_f32_e32 v44, v47, v7
	v_fmac_f32_e32 v1, v41, v2
	v_fma_f32 v2, v41, v3, -v4
	v_mul_f32_e32 v3, v47, v6
	v_fmac_f32_e32 v44, v46, v6
	v_cvt_f64_f32_e32 v[40:41], v1
	v_cvt_f64_f32_e32 v[42:43], v2
	v_fma_f32 v4, v46, v7, -v3
	v_add_co_u32 v46, s0, v26, s4
	v_add_co_ci_u32_e64 v47, s0, s5, v27, s0
	ds_read2_b64 v[0:3], v21 offset0:124 offset1:187
	v_add_co_u32 v50, s0, v46, s6
	v_add_co_ci_u32_e64 v51, s0, s7, v47, s0
	v_cvt_f64_f32_e32 v[48:49], v4
	ds_read2_b64 v[4:7], v18 offset0:9 offset1:72
	global_store_dwordx2 v[12:13], v[16:17], off
	global_store_dwordx2 v[34:35], v[22:23], off
	;; [unrolled: 1-line block ×5, first 2 shown]
	s_clause 0x1
	buffer_load_dword v10, off, s[16:19], 0 offset:72
	buffer_load_dword v11, off, s[16:19], 0 offset:76
	v_mul_f64 v[21:22], v[36:37], s[2:3]
	s_clause 0x1
	buffer_load_dword v36, off, s[16:19], 0 offset:104
	buffer_load_dword v37, off, s[16:19], 0 offset:108
	v_cvt_f32_f64_e32 v13, v[8:9]
	v_mul_f64 v[16:17], v[32:33], s[2:3]
	v_mul_f64 v[23:24], v[38:39], s[2:3]
	v_cvt_f64_f32_e32 v[44:45], v44
	v_mul_f64 v[25:26], v[40:41], s[2:3]
	v_mul_f64 v[27:28], v[42:43], s[2:3]
	v_cvt_f32_f64_e32 v12, v[30:31]
	v_mul_f64 v[31:32], v[48:49], s[2:3]
	v_cvt_f32_f64_e32 v16, v[16:17]
	v_cvt_f32_f64_e32 v17, v[21:22]
	v_mul_f64 v[29:30], v[44:45], s[2:3]
	v_cvt_f32_f64_e32 v25, v[25:26]
	v_cvt_f32_f64_e32 v26, v[27:28]
	;; [unrolled: 1-line block ×6, first 2 shown]
	s_waitcnt vmcnt(2) lgkmcnt(1)
	v_mul_f32_e32 v8, v11, v1
	s_waitcnt vmcnt(0) lgkmcnt(0)
	v_mul_f32_e32 v35, v37, v5
	v_mul_f32_e32 v9, v37, v4
	v_fmac_f32_e32 v8, v10, v0
	v_mul_f32_e32 v0, v11, v0
	v_fmac_f32_e32 v35, v36, v4
	v_fma_f32 v37, v36, v5, -v9
	v_cvt_f64_f32_e32 v[33:34], v8
	v_fma_f32 v8, v10, v1, -v0
	v_cvt_f64_f32_e32 v[35:36], v35
	v_cvt_f64_f32_e32 v[37:38], v37
	v_add_co_u32 v0, s0, v50, s4
	v_cvt_f64_f32_e32 v[4:5], v8
	ds_read2_b64 v[8:11], v19 offset0:22 offset1:85
	s_clause 0x1
	buffer_load_dword v41, off, s[16:19], 0 offset:120
	buffer_load_dword v42, off, s[16:19], 0 offset:124
	v_add_co_ci_u32_e64 v1, s0, s5, v51, s0
	v_add_co_u32 v21, s0, v0, s4
	v_add_co_ci_u32_e64 v22, s0, s5, v1, s0
	v_add_co_u32 v14, s0, v21, s6
	v_add_co_ci_u32_e64 v15, s0, s7, v22, s0
	v_mul_f64 v[29:30], v[33:34], s[2:3]
	v_mul_f64 v[31:32], v[35:36], s[2:3]
	;; [unrolled: 1-line block ×4, first 2 shown]
	s_waitcnt vmcnt(0) lgkmcnt(0)
	v_mul_f32_e32 v39, v42, v9
	v_mul_f32_e32 v40, v42, v8
	s_clause 0x1
	buffer_load_dword v42, off, s[16:19], 0 offset:88
	buffer_load_dword v43, off, s[16:19], 0 offset:92
	v_fmac_f32_e32 v39, v41, v8
	v_fma_f32 v37, v41, v9, -v40
	v_add_co_u32 v8, s0, v14, s4
	v_add_co_ci_u32_e64 v9, s0, s5, v15, s0
	v_cvt_f64_f32_e32 v[35:36], v39
	v_cvt_f64_f32_e32 v[37:38], v37
	s_waitcnt vmcnt(0)
	v_mul_f32_e32 v40, v43, v3
	v_mul_f32_e32 v41, v43, v2
	v_fmac_f32_e32 v40, v42, v2
	v_add_co_u32 v2, s0, v8, s4
	v_fma_f32 v41, v42, v3, -v41
	v_add_co_ci_u32_e64 v3, s0, s5, v9, s0
	global_store_dwordx2 v[0:1], v[12:13], off
	global_store_dwordx2 v[21:22], v[16:17], off
	;; [unrolled: 1-line block ×5, first 2 shown]
	v_cvt_f32_f64_e32 v9, v[4:5]
	v_cvt_f32_f64_e32 v4, v[31:32]
	s_clause 0x1
	buffer_load_dword v31, off, s[16:19], 0 offset:24
	buffer_load_dword v32, off, s[16:19], 0 offset:28
	v_cvt_f32_f64_e32 v5, v[33:34]
	v_cvt_f32_f64_e32 v8, v[29:30]
	v_add_co_u32 v12, s0, v2, s6
	v_add_co_ci_u32_e64 v13, s0, s7, v3, s0
	v_mul_f64 v[14:15], v[35:36], s[2:3]
	v_add_co_u32 v21, s0, v12, s4
	v_add_co_ci_u32_e64 v22, s0, s5, v13, s0
	v_cvt_f64_f32_e32 v[39:40], v40
	v_cvt_f64_f32_e32 v[41:42], v41
	v_mul_f64 v[16:17], v[37:38], s[2:3]
	v_cvt_f32_f64_e32 v14, v[14:15]
	v_mul_f64 v[23:24], v[39:40], s[2:3]
	v_mul_f64 v[25:26], v[41:42], s[2:3]
	v_cvt_f32_f64_e32 v15, v[16:17]
	v_add_co_u32 v16, s0, v21, s4
	v_add_co_ci_u32_e64 v17, s0, s5, v22, s0
	s_waitcnt vmcnt(0)
	v_mul_f32_e32 v27, v32, v7
	v_fmac_f32_e32 v27, v31, v6
	v_mul_f32_e32 v6, v32, v6
	s_clause 0x1
	buffer_load_dword v32, off, s[16:19], 0 offset:80
	buffer_load_dword v33, off, s[16:19], 0 offset:84
	ds_read2_b64 v[0:3], v20 offset0:122 offset1:185
	global_store_dwordx2 v[12:13], v[8:9], off
	global_store_dwordx2 v[21:22], v[4:5], off
	v_cvt_f64_f32_e32 v[27:28], v27
	v_fma_f32 v6, v31, v7, -v6
	v_add_co_u32 v20, s0, v16, s6
	v_add_co_ci_u32_e64 v21, s0, s7, v17, s0
	v_cvt_f64_f32_e32 v[12:13], v6
	s_waitcnt vmcnt(0)
	v_mul_f32_e32 v30, v33, v10
	v_mul_f32_e32 v29, v33, v11
	v_fma_f32 v7, v32, v11, -v30
	v_fmac_f32_e32 v29, v32, v10
	v_cvt_f64_f32_e32 v[31:32], v7
	ds_read2_b64 v[4:7], v18 offset0:135 offset1:198
	ds_read2_b64 v[8:11], v19 offset0:148 offset1:211
	s_clause 0x3
	buffer_load_dword v33, off, s[16:19], 0 offset:48
	buffer_load_dword v34, off, s[16:19], 0 offset:52
	;; [unrolled: 1-line block ×4, first 2 shown]
	v_cvt_f64_f32_e32 v[29:30], v29
	v_cvt_f32_f64_e32 v18, v[23:24]
	v_cvt_f32_f64_e32 v19, v[25:26]
	v_mul_f64 v[22:23], v[27:28], s[2:3]
	s_waitcnt vmcnt(2) lgkmcnt(2)
	v_mul_f32_e32 v26, v34, v1
	v_mul_f32_e32 v24, v34, v0
	v_fmac_f32_e32 v26, v33, v0
	v_fma_f32 v28, v33, v1, -v24
	v_mul_f64 v[0:1], v[12:13], s[2:3]
	v_mul_f64 v[12:13], v[29:30], s[2:3]
	;; [unrolled: 1-line block ×3, first 2 shown]
	s_waitcnt vmcnt(0) lgkmcnt(1)
	v_mul_f32_e32 v30, v36, v5
	v_mul_f32_e32 v31, v36, v4
	s_clause 0x3
	buffer_load_dword v36, off, s[16:19], 0 offset:64
	buffer_load_dword v37, off, s[16:19], 0 offset:68
	;; [unrolled: 1-line block ×4, first 2 shown]
	v_cvt_f64_f32_e32 v[26:27], v26
	v_cvt_f64_f32_e32 v[28:29], v28
	v_fmac_f32_e32 v30, v35, v4
	v_fma_f32 v31, v35, v5, -v31
	v_cvt_f64_f32_e32 v[4:5], v30
	v_cvt_f32_f64_e32 v12, v[12:13]
	v_cvt_f32_f64_e32 v13, v[24:25]
	v_mul_f64 v[4:5], v[4:5], s[2:3]
	v_cvt_f32_f64_e32 v4, v[4:5]
	s_waitcnt vmcnt(2) lgkmcnt(0)
	v_mul_f32_e32 v32, v37, v9
	s_waitcnt vmcnt(0)
	v_mul_f32_e32 v34, v41, v3
	v_mul_f32_e32 v33, v37, v8
	v_fmac_f32_e32 v32, v36, v8
	v_fmac_f32_e32 v34, v40, v2
	v_mul_f32_e32 v2, v41, v2
	s_clause 0x1
	buffer_load_dword v41, off, s[16:19], 0 offset:32
	buffer_load_dword v42, off, s[16:19], 0 offset:36
	v_fma_f32 v33, v36, v9, -v33
	v_cvt_f64_f32_e32 v[8:9], v31
	v_cvt_f64_f32_e32 v[30:31], v32
	v_fma_f32 v2, v40, v3, -v2
	v_cvt_f64_f32_e32 v[34:35], v34
	v_cvt_f64_f32_e32 v[32:33], v33
	;; [unrolled: 1-line block ×3, first 2 shown]
	v_mul_f64 v[8:9], v[8:9], s[2:3]
	v_mul_f64 v[24:25], v[34:35], s[2:3]
	;; [unrolled: 1-line block ×3, first 2 shown]
	v_cvt_f32_f64_e32 v5, v[8:9]
	s_waitcnt vmcnt(0)
	v_mul_f32_e32 v36, v42, v7
	v_mul_f32_e32 v37, v42, v6
	s_clause 0x1
	buffer_load_dword v42, off, s[16:19], 0 offset:40
	buffer_load_dword v43, off, s[16:19], 0 offset:44
	global_store_dwordx2 v[16:17], v[14:15], off
	global_store_dwordx2 v[20:21], v[18:19], off
	v_cvt_f32_f64_e32 v15, v[0:1]
	v_fmac_f32_e32 v36, v41, v6
	v_fma_f32 v37, v41, v7, -v37
	v_mul_f64 v[0:1], v[26:27], s[2:3]
	v_mul_f64 v[16:17], v[28:29], s[2:3]
	v_add_co_u32 v18, s0, v20, s4
	v_cvt_f64_f32_e32 v[6:7], v36
	v_cvt_f32_f64_e32 v14, v[22:23]
	v_add_co_ci_u32_e64 v19, s0, s5, v21, s0
	v_mul_f64 v[20:21], v[30:31], s[2:3]
	v_mul_f64 v[22:23], v[32:33], s[2:3]
	v_add_co_u32 v30, s0, v18, s4
	v_add_co_ci_u32_e64 v31, s0, s5, v19, s0
	v_cvt_f32_f64_e32 v0, v[0:1]
	v_cvt_f32_f64_e32 v1, v[16:17]
	v_add_co_u32 v16, s0, v30, s6
	v_mul_f64 v[6:7], v[6:7], s[2:3]
	v_add_co_ci_u32_e64 v17, s0, s7, v31, s0
	v_add_co_u32 v8, s0, v16, s4
	v_cvt_f32_f64_e32 v20, v[20:21]
	v_add_co_ci_u32_e64 v9, s0, s5, v17, s0
	v_cvt_f32_f64_e32 v21, v[22:23]
	v_cvt_f32_f64_e32 v23, v[2:3]
	;; [unrolled: 1-line block ×3, first 2 shown]
	global_store_dwordx2 v[18:19], v[14:15], off
	global_store_dwordx2 v[30:31], v[12:13], off
	;; [unrolled: 1-line block ×3, first 2 shown]
	v_cvt_f32_f64_e32 v2, v[6:7]
	s_waitcnt vmcnt(0)
	v_mul_f32_e32 v38, v43, v11
	v_mul_f32_e32 v39, v43, v10
	v_fmac_f32_e32 v38, v42, v10
	v_fma_f32 v39, v42, v11, -v39
	v_cvt_f64_f32_e32 v[10:11], v37
	v_cvt_f64_f32_e32 v[36:37], v38
	;; [unrolled: 1-line block ×3, first 2 shown]
	v_mul_f64 v[10:11], v[10:11], s[2:3]
	v_mul_f64 v[26:27], v[36:37], s[2:3]
	;; [unrolled: 1-line block ×3, first 2 shown]
	v_cvt_f32_f64_e32 v3, v[10:11]
	v_add_co_u32 v10, s0, v8, s4
	v_add_co_ci_u32_e64 v11, s0, s5, v9, s0
	v_cvt_f32_f64_e32 v6, v[26:27]
	v_cvt_f32_f64_e32 v7, v[28:29]
	v_add_co_u32 v14, s0, v10, s6
	v_add_co_ci_u32_e64 v15, s0, s7, v11, s0
	v_add_co_u32 v12, s0, v14, s4
	v_add_co_ci_u32_e64 v13, s0, s5, v15, s0
	;; [unrolled: 2-line block ×3, first 2 shown]
	global_store_dwordx2 v[8:9], v[4:5], off
	global_store_dwordx2 v[10:11], v[20:21], off
	;; [unrolled: 1-line block ×5, first 2 shown]
	s_and_b32 exec_lo, exec_lo, vcc_lo
	s_cbranch_execz .LBB0_31
; %bb.30:
	s_clause 0x1
	buffer_load_dword v2, off, s[16:19], 0 offset:8
	buffer_load_dword v3, off, s[16:19], 0 offset:12
	v_add_co_u32 v0, vcc_lo, v0, s6
	v_add_co_ci_u32_e32 v1, vcc_lo, s7, v1, vcc_lo
	s_waitcnt vmcnt(0)
	global_load_dwordx2 v[2:3], v[2:3], off offset:1984
	ds_read_b64 v[4:5], v255 offset:4032
	ds_read_b64 v[6:7], v255 offset:8232
	;; [unrolled: 1-line block ×3, first 2 shown]
	s_waitcnt vmcnt(0) lgkmcnt(2)
	v_mul_f32_e32 v10, v5, v3
	v_mul_f32_e32 v3, v4, v3
	v_fmac_f32_e32 v10, v4, v2
	v_fma_f32 v4, v2, v5, -v3
	v_cvt_f64_f32_e32 v[2:3], v10
	v_cvt_f64_f32_e32 v[4:5], v4
	v_mul_f64 v[2:3], v[2:3], s[2:3]
	v_mul_f64 v[4:5], v[4:5], s[2:3]
	v_cvt_f32_f64_e32 v2, v[2:3]
	v_cvt_f32_f64_e32 v3, v[4:5]
	global_store_dwordx2 v[0:1], v[2:3], off
	s_clause 0x1
	buffer_load_dword v2, off, s[16:19], 0
	buffer_load_dword v3, off, s[16:19], 0 offset:4
	v_add_co_u32 v0, vcc_lo, v0, s4
	v_add_co_ci_u32_e32 v1, vcc_lo, s5, v1, vcc_lo
	s_waitcnt vmcnt(0)
	global_load_dwordx2 v[2:3], v[2:3], off offset:40
	s_waitcnt vmcnt(0) lgkmcnt(1)
	v_mul_f32_e32 v4, v7, v3
	v_mul_f32_e32 v3, v6, v3
	v_fmac_f32_e32 v4, v6, v2
	v_fma_f32 v5, v2, v7, -v3
	v_cvt_f64_f32_e32 v[2:3], v4
	v_cvt_f64_f32_e32 v[4:5], v5
	v_mul_f64 v[2:3], v[2:3], s[2:3]
	v_mul_f64 v[4:5], v[4:5], s[2:3]
	v_cvt_f32_f64_e32 v2, v[2:3]
	v_cvt_f32_f64_e32 v3, v[4:5]
	global_store_dwordx2 v[0:1], v[2:3], off
	global_load_dwordx2 v[2:3], v[222:223], off offset:144
	v_add_co_u32 v0, vcc_lo, v0, s4
	v_add_co_ci_u32_e32 v1, vcc_lo, s5, v1, vcc_lo
	s_waitcnt vmcnt(0) lgkmcnt(0)
	v_mul_f32_e32 v4, v9, v3
	v_mul_f32_e32 v3, v8, v3
	v_fmac_f32_e32 v4, v8, v2
	v_fma_f32 v5, v2, v9, -v3
	v_cvt_f64_f32_e32 v[2:3], v4
	v_cvt_f64_f32_e32 v[4:5], v5
	v_mul_f64 v[2:3], v[2:3], s[2:3]
	v_mul_f64 v[4:5], v[4:5], s[2:3]
	v_cvt_f32_f64_e32 v2, v[2:3]
	v_cvt_f32_f64_e32 v3, v[4:5]
	global_store_dwordx2 v[0:1], v[2:3], off
.LBB0_31:
	s_endpgm
	.section	.rodata,"a",@progbits
	.p2align	6, 0x0
	.amdhsa_kernel bluestein_single_fwd_len1575_dim1_sp_op_CI_CI
		.amdhsa_group_segment_fixed_size 12600
		.amdhsa_private_segment_fixed_size 292
		.amdhsa_kernarg_size 104
		.amdhsa_user_sgpr_count 6
		.amdhsa_user_sgpr_private_segment_buffer 1
		.amdhsa_user_sgpr_dispatch_ptr 0
		.amdhsa_user_sgpr_queue_ptr 0
		.amdhsa_user_sgpr_kernarg_segment_ptr 1
		.amdhsa_user_sgpr_dispatch_id 0
		.amdhsa_user_sgpr_flat_scratch_init 0
		.amdhsa_user_sgpr_private_segment_size 0
		.amdhsa_wavefront_size32 1
		.amdhsa_uses_dynamic_stack 0
		.amdhsa_system_sgpr_private_segment_wavefront_offset 1
		.amdhsa_system_sgpr_workgroup_id_x 1
		.amdhsa_system_sgpr_workgroup_id_y 0
		.amdhsa_system_sgpr_workgroup_id_z 0
		.amdhsa_system_sgpr_workgroup_info 0
		.amdhsa_system_vgpr_workitem_id 0
		.amdhsa_next_free_vgpr 256
		.amdhsa_next_free_sgpr 20
		.amdhsa_reserve_vcc 1
		.amdhsa_reserve_flat_scratch 0
		.amdhsa_float_round_mode_32 0
		.amdhsa_float_round_mode_16_64 0
		.amdhsa_float_denorm_mode_32 3
		.amdhsa_float_denorm_mode_16_64 3
		.amdhsa_dx10_clamp 1
		.amdhsa_ieee_mode 1
		.amdhsa_fp16_overflow 0
		.amdhsa_workgroup_processor_mode 1
		.amdhsa_memory_ordered 1
		.amdhsa_forward_progress 0
		.amdhsa_shared_vgpr_count 0
		.amdhsa_exception_fp_ieee_invalid_op 0
		.amdhsa_exception_fp_denorm_src 0
		.amdhsa_exception_fp_ieee_div_zero 0
		.amdhsa_exception_fp_ieee_overflow 0
		.amdhsa_exception_fp_ieee_underflow 0
		.amdhsa_exception_fp_ieee_inexact 0
		.amdhsa_exception_int_div_zero 0
	.end_amdhsa_kernel
	.text
.Lfunc_end0:
	.size	bluestein_single_fwd_len1575_dim1_sp_op_CI_CI, .Lfunc_end0-bluestein_single_fwd_len1575_dim1_sp_op_CI_CI
                                        ; -- End function
	.section	.AMDGPU.csdata,"",@progbits
; Kernel info:
; codeLenInByte = 29704
; NumSgprs: 22
; NumVgprs: 256
; ScratchSize: 292
; MemoryBound: 0
; FloatMode: 240
; IeeeMode: 1
; LDSByteSize: 12600 bytes/workgroup (compile time only)
; SGPRBlocks: 2
; VGPRBlocks: 31
; NumSGPRsForWavesPerEU: 22
; NumVGPRsForWavesPerEU: 256
; Occupancy: 4
; WaveLimiterHint : 1
; COMPUTE_PGM_RSRC2:SCRATCH_EN: 1
; COMPUTE_PGM_RSRC2:USER_SGPR: 6
; COMPUTE_PGM_RSRC2:TRAP_HANDLER: 0
; COMPUTE_PGM_RSRC2:TGID_X_EN: 1
; COMPUTE_PGM_RSRC2:TGID_Y_EN: 0
; COMPUTE_PGM_RSRC2:TGID_Z_EN: 0
; COMPUTE_PGM_RSRC2:TIDIG_COMP_CNT: 0
	.text
	.p2alignl 6, 3214868480
	.fill 48, 4, 3214868480
	.type	__hip_cuid_3feb701905d469c8,@object ; @__hip_cuid_3feb701905d469c8
	.section	.bss,"aw",@nobits
	.globl	__hip_cuid_3feb701905d469c8
__hip_cuid_3feb701905d469c8:
	.byte	0                               ; 0x0
	.size	__hip_cuid_3feb701905d469c8, 1

	.ident	"AMD clang version 19.0.0git (https://github.com/RadeonOpenCompute/llvm-project roc-6.4.0 25133 c7fe45cf4b819c5991fe208aaa96edf142730f1d)"
	.section	".note.GNU-stack","",@progbits
	.addrsig
	.addrsig_sym __hip_cuid_3feb701905d469c8
	.amdgpu_metadata
---
amdhsa.kernels:
  - .args:
      - .actual_access:  read_only
        .address_space:  global
        .offset:         0
        .size:           8
        .value_kind:     global_buffer
      - .actual_access:  read_only
        .address_space:  global
        .offset:         8
        .size:           8
        .value_kind:     global_buffer
      - .actual_access:  read_only
        .address_space:  global
        .offset:         16
        .size:           8
        .value_kind:     global_buffer
      - .actual_access:  read_only
        .address_space:  global
        .offset:         24
        .size:           8
        .value_kind:     global_buffer
      - .actual_access:  read_only
        .address_space:  global
        .offset:         32
        .size:           8
        .value_kind:     global_buffer
      - .offset:         40
        .size:           8
        .value_kind:     by_value
      - .address_space:  global
        .offset:         48
        .size:           8
        .value_kind:     global_buffer
      - .address_space:  global
        .offset:         56
        .size:           8
        .value_kind:     global_buffer
      - .address_space:  global
        .offset:         64
        .size:           8
        .value_kind:     global_buffer
      - .address_space:  global
        .offset:         72
        .size:           8
        .value_kind:     global_buffer
      - .offset:         80
        .size:           4
        .value_kind:     by_value
      - .address_space:  global
        .offset:         88
        .size:           8
        .value_kind:     global_buffer
      - .address_space:  global
        .offset:         96
        .size:           8
        .value_kind:     global_buffer
    .group_segment_fixed_size: 12600
    .kernarg_segment_align: 8
    .kernarg_segment_size: 104
    .language:       OpenCL C
    .language_version:
      - 2
      - 0
    .max_flat_workgroup_size: 63
    .name:           bluestein_single_fwd_len1575_dim1_sp_op_CI_CI
    .private_segment_fixed_size: 292
    .sgpr_count:     22
    .sgpr_spill_count: 0
    .symbol:         bluestein_single_fwd_len1575_dim1_sp_op_CI_CI.kd
    .uniform_work_group_size: 1
    .uses_dynamic_stack: false
    .vgpr_count:     256
    .vgpr_spill_count: 72
    .wavefront_size: 32
    .workgroup_processor_mode: 1
amdhsa.target:   amdgcn-amd-amdhsa--gfx1030
amdhsa.version:
  - 1
  - 2
...

	.end_amdgpu_metadata
